;; amdgpu-corpus repo=ROCm/rocFFT kind=compiled arch=gfx906 opt=O3
	.text
	.amdgcn_target "amdgcn-amd-amdhsa--gfx906"
	.amdhsa_code_object_version 6
	.protected	bluestein_single_fwd_len352_dim1_dp_op_CI_CI ; -- Begin function bluestein_single_fwd_len352_dim1_dp_op_CI_CI
	.globl	bluestein_single_fwd_len352_dim1_dp_op_CI_CI
	.p2align	8
	.type	bluestein_single_fwd_len352_dim1_dp_op_CI_CI,@function
bluestein_single_fwd_len352_dim1_dp_op_CI_CI: ; @bluestein_single_fwd_len352_dim1_dp_op_CI_CI
; %bb.0:
	s_load_dwordx4 s[8:11], s[4:5], 0x28
	v_lshrrev_b32_e32 v1, 5, v0
	v_mov_b32_e32 v74, 0
	v_lshl_or_b32 v193, s6, 1, v1
	v_mov_b32_e32 v194, v74
	s_waitcnt lgkmcnt(0)
	v_cmp_gt_u64_e32 vcc, s[8:9], v[193:194]
	s_and_saveexec_b64 s[0:1], vcc
	s_cbranch_execz .LBB0_18
; %bb.1:
	s_load_dwordx4 s[0:3], s[4:5], 0x18
	s_load_dwordx4 s[12:15], s[4:5], 0x0
	v_and_b32_e32 v230, 31, v0
	v_lshlrev_b32_e32 v206, 4, v230
	v_or_b32_e32 v32, 0x140, v230
	s_waitcnt lgkmcnt(0)
	s_load_dwordx4 s[16:19], s[0:1], 0x0
	v_lshlrev_b32_e32 v207, 4, v32
	v_and_b32_e32 v0, 32, v0
	v_mov_b32_e32 v73, 0x160
	s_mov_b32 s20, 0x43842ef
	s_waitcnt lgkmcnt(0)
	v_mad_u64_u32 v[1:2], s[0:1], s18, v193, 0
	v_mad_u64_u32 v[3:4], s[0:1], s16, v230, 0
	s_mov_b32 s28, 0xbb3a28a1
	s_mov_b32 s26, 0xfd768dbf
	v_mad_u64_u32 v[5:6], s[0:1], s19, v193, v[2:3]
	s_mov_b32 s21, 0xbfefac9e
	s_mov_b32 s29, 0xbfe82f19
	v_mad_u64_u32 v[6:7], s[0:1], s17, v230, v[4:5]
	v_mov_b32_e32 v2, v5
	v_lshlrev_b64 v[1:2], 4, v[1:2]
	v_mov_b32_e32 v4, v6
	v_mov_b32_e32 v7, s11
	v_lshlrev_b64 v[3:4], 4, v[3:4]
	v_add_co_u32_e32 v1, vcc, s10, v1
	v_addc_co_u32_e32 v2, vcc, v7, v2, vcc
	v_add_co_u32_e32 v1, vcc, v1, v3
	v_addc_co_u32_e32 v2, vcc, v2, v4, vcc
	s_lshl_b64 s[0:1], s[16:17], 9
	global_load_dwordx4 v[45:48], v[1:2], off
	v_mov_b32_e32 v31, s1
	v_add_co_u32_e32 v1, vcc, s0, v1
	v_addc_co_u32_e32 v2, vcc, v2, v31, vcc
	global_load_dwordx4 v[41:44], v206, s[12:13]
	global_load_dwordx4 v[17:20], v206, s[12:13] offset:512
	v_add_co_u32_e32 v3, vcc, s0, v1
	v_addc_co_u32_e32 v4, vcc, v2, v31, vcc
	global_load_dwordx4 v[49:52], v[1:2], off
	global_load_dwordx4 v[53:56], v[3:4], off
	global_load_dwordx4 v[37:40], v206, s[12:13] offset:1024
	global_load_dwordx4 v[21:24], v206, s[12:13] offset:1536
	v_add_co_u32_e32 v1, vcc, s0, v3
	v_addc_co_u32_e32 v2, vcc, v4, v31, vcc
	v_add_co_u32_e32 v3, vcc, s0, v1
	v_addc_co_u32_e32 v4, vcc, v2, v31, vcc
	global_load_dwordx4 v[57:60], v[1:2], off
	global_load_dwordx4 v[61:64], v[3:4], off
	v_add_co_u32_e32 v1, vcc, s0, v3
	v_addc_co_u32_e32 v2, vcc, v4, v31, vcc
	global_load_dwordx4 v[65:68], v[1:2], off
	global_load_dwordx4 v[25:28], v206, s[12:13] offset:2048
	global_load_dwordx4 v[13:16], v206, s[12:13] offset:2560
	v_add_co_u32_e32 v1, vcc, s0, v1
	v_addc_co_u32_e32 v2, vcc, v2, v31, vcc
	global_load_dwordx4 v[69:72], v[1:2], off
	v_add_co_u32_e32 v1, vcc, s0, v1
	v_addc_co_u32_e32 v2, vcc, v2, v31, vcc
	global_load_dwordx4 v[75:78], v[1:2], off
	global_load_dwordx4 v[33:36], v206, s[12:13] offset:3072
	global_load_dwordx4 v[9:12], v206, s[12:13] offset:3584
	v_add_co_u32_e32 v5, vcc, s0, v1
	v_or_b32_e32 v3, 0x100, v230
	v_addc_co_u32_e32 v6, vcc, v2, v31, vcc
	v_lshlrev_b32_e32 v209, 4, v3
	v_or_b32_e32 v7, 0x120, v230
	v_add_co_u32_e32 v29, vcc, s0, v5
	global_load_dwordx4 v[79:82], v[5:6], off
	global_load_dwordx4 v[1:4], v209, s[12:13]
	v_addc_co_u32_e32 v30, vcc, v6, v31, vcc
	v_lshlrev_b32_e32 v208, 4, v7
	global_load_dwordx4 v[5:8], v208, s[12:13]
	global_load_dwordx4 v[83:86], v[29:30], off
	v_add_co_u32_e32 v91, vcc, s0, v29
	v_addc_co_u32_e32 v92, vcc, v30, v31, vcc
	global_load_dwordx4 v[29:32], v207, s[12:13]
	global_load_dwordx4 v[87:90], v[91:92], off
	v_cmp_ne_u32_e32 vcc, 0, v0
	v_cndmask_b32_e32 v210, 0, v73, vcc
	v_or_b32_e32 v73, v210, v230
	v_lshlrev_b32_e32 v231, 4, v73
	v_lshl_or_b32 v0, v210, 4, v206
	s_load_dwordx4 s[8:11], s[2:3], 0x0
	s_mov_b32 s16, 0xf8bb580b
	s_mov_b32 s17, 0xbfe14ced
	s_mov_b32 s3, 0xbfed1bb4
	s_mov_b32 s2, 0x8eee2c13
	s_mov_b32 s27, 0xbfd207e7
	s_mov_b32 s6, 0x8764f0ba
	s_mov_b32 s0, 0xd9c712b6
	s_mov_b32 s18, 0x640f44db
	s_mov_b32 s22, 0x7f775887
	s_mov_b32 s24, 0x9bcd5057
	s_mov_b32 s7, 0x3feaeb8c
	s_mov_b32 s1, 0x3fda9628
	s_mov_b32 s19, 0xbfc2375f
	s_mov_b32 s23, 0xbfe4f49e
	s_mov_b32 s25, 0xbfeeb42a
	s_mov_b32 s37, 0x3fd207e7
	s_mov_b32 s36, s26
	s_mov_b32 s31, 0x3fefac9e
	s_mov_b32 s30, s20
	s_mov_b32 s35, 0x3fe14ced
	s_mov_b32 s34, s16
	s_waitcnt vmcnt(20)
	v_mul_f64 v[91:92], v[47:48], v[43:44]
	v_mul_f64 v[93:94], v[45:46], v[43:44]
	s_load_dwordx2 s[4:5], s[4:5], 0x38
	v_or_b32_e32 v73, 0xa0, v230
	s_waitcnt vmcnt(18)
	v_mul_f64 v[95:96], v[51:52], v[19:20]
	v_mul_f64 v[97:98], v[49:50], v[19:20]
	s_waitcnt vmcnt(16)
	v_mul_f64 v[99:100], v[55:56], v[39:40]
	v_mul_f64 v[101:102], v[53:54], v[39:40]
	v_fma_f64 v[45:46], v[45:46], v[41:42], v[91:92]
	v_fma_f64 v[47:48], v[47:48], v[41:42], -v[93:94]
	v_fma_f64 v[49:50], v[49:50], v[17:18], v[95:96]
	v_fma_f64 v[51:52], v[51:52], v[17:18], -v[97:98]
	;; [unrolled: 2-line block ×3, first 2 shown]
	ds_write_b128 v231, v[45:48]
	ds_write_b128 v0, v[49:52] offset:512
	ds_write_b128 v0, v[53:56] offset:1024
	s_waitcnt vmcnt(11)
	v_mul_f64 v[95:96], v[63:64], v[27:28]
	v_mul_f64 v[51:52], v[61:62], v[27:28]
	s_waitcnt vmcnt(10)
	v_mul_f64 v[53:54], v[67:68], v[15:16]
	v_mul_f64 v[55:56], v[65:66], v[15:16]
	;; [unrolled: 1-line block ×4, first 2 shown]
	s_waitcnt vmcnt(7)
	v_mul_f64 v[97:98], v[71:72], v[35:36]
	v_mul_f64 v[99:100], v[69:70], v[35:36]
	v_fma_f64 v[49:50], v[61:62], v[25:26], v[95:96]
	v_fma_f64 v[51:52], v[63:64], v[25:26], -v[51:52]
	s_waitcnt vmcnt(6)
	v_mul_f64 v[61:62], v[77:78], v[11:12]
	v_mul_f64 v[63:64], v[75:76], v[11:12]
	v_fma_f64 v[53:54], v[65:66], v[13:14], v[53:54]
	v_fma_f64 v[55:56], v[67:68], v[13:14], -v[55:56]
	v_fma_f64 v[45:46], v[57:58], v[21:22], v[91:92]
	v_fma_f64 v[47:48], v[59:60], v[21:22], -v[93:94]
	;; [unrolled: 2-line block ×3, first 2 shown]
	s_waitcnt vmcnt(4)
	v_mul_f64 v[65:66], v[81:82], v[3:4]
	v_mul_f64 v[67:68], v[79:80], v[3:4]
	v_fma_f64 v[61:62], v[75:76], v[9:10], v[61:62]
	v_fma_f64 v[63:64], v[77:78], v[9:10], -v[63:64]
	s_waitcnt vmcnt(2)
	v_mul_f64 v[69:70], v[85:86], v[7:8]
	v_mul_f64 v[71:72], v[83:84], v[7:8]
	v_fma_f64 v[65:66], v[79:80], v[1:2], v[65:66]
	v_fma_f64 v[67:68], v[81:82], v[1:2], -v[67:68]
	;; [unrolled: 5-line block ×3, first 2 shown]
	v_fma_f64 v[75:76], v[87:88], v[29:30], v[91:92]
	v_fma_f64 v[77:78], v[89:90], v[29:30], -v[93:94]
	ds_write_b128 v0, v[45:48] offset:1536
	ds_write_b128 v0, v[49:52] offset:2048
	;; [unrolled: 1-line block ×8, first 2 shown]
	s_waitcnt lgkmcnt(0)
	; wave barrier
	s_waitcnt lgkmcnt(0)
	ds_read_b128 v[49:52], v231
	ds_read_b128 v[45:48], v0 offset:512
	ds_read_b128 v[61:64], v0 offset:1024
	;; [unrolled: 1-line block ×3, first 2 shown]
	s_waitcnt lgkmcnt(2)
	v_add_f64 v[55:56], v[51:52], v[47:48]
	v_add_f64 v[53:54], v[49:50], v[45:46]
	s_waitcnt lgkmcnt(1)
	v_add_f64 v[55:56], v[55:56], v[63:64]
	v_add_f64 v[53:54], v[53:54], v[61:62]
	;; [unrolled: 3-line block ×3, first 2 shown]
	ds_read_b128 v[79:82], v0 offset:2048
	ds_read_b128 v[53:56], v0 offset:2560
	;; [unrolled: 1-line block ×4, first 2 shown]
	s_waitcnt lgkmcnt(1)
	v_add_f64 v[109:110], v[55:56], -v[85:86]
	v_add_f64 v[59:60], v[59:60], v[81:82]
	v_add_f64 v[57:58], v[57:58], v[79:80]
	v_add_f64 v[111:112], v[53:54], -v[83:84]
	v_add_f64 v[113:114], v[53:54], v[83:84]
	v_add_f64 v[115:116], v[55:56], v[85:86]
	;; [unrolled: 1-line block ×4, first 2 shown]
	v_mul_f64 v[151:152], v[111:112], s[28:29]
	v_add_f64 v[59:60], v[59:60], v[85:86]
	v_add_f64 v[57:58], v[57:58], v[83:84]
	s_waitcnt lgkmcnt(0)
	v_add_f64 v[93:94], v[59:60], v[89:90]
	v_add_f64 v[91:92], v[57:58], v[87:88]
	ds_read_b128 v[57:60], v0 offset:5120
	ds_read_b128 v[75:78], v0 offset:4096
	;; [unrolled: 1-line block ×3, first 2 shown]
	s_waitcnt lgkmcnt(0)
	; wave barrier
	s_waitcnt lgkmcnt(0)
	v_add_f64 v[95:96], v[47:48], -v[59:60]
	v_add_f64 v[101:102], v[45:46], -v[57:58]
	v_add_f64 v[97:98], v[45:46], v[57:58]
	v_add_f64 v[93:94], v[93:94], v[77:78]
	;; [unrolled: 1-line block ×4, first 2 shown]
	v_mul_f64 v[99:100], v[95:96], s[16:17]
	v_mul_f64 v[105:106], v[95:96], s[2:3]
	;; [unrolled: 1-line block ×3, first 2 shown]
	v_add_f64 v[93:94], v[93:94], v[67:68]
	v_add_f64 v[91:92], v[91:92], v[65:66]
	v_mul_f64 v[85:86], v[95:96], s[28:29]
	v_mul_f64 v[117:118], v[101:102], s[20:21]
	v_fma_f64 v[107:108], v[97:98], s[6:7], -v[99:100]
	v_fma_f64 v[99:100], v[97:98], s[6:7], v[99:100]
	v_fma_f64 v[53:54], v[97:98], s[0:1], -v[105:106]
	v_add_f64 v[47:48], v[93:94], v[59:60]
	v_add_f64 v[59:60], v[63:64], v[67:68]
	v_add_f64 v[63:64], v[63:64], -v[67:68]
	v_add_f64 v[67:68], v[71:72], v[77:78]
	v_add_f64 v[71:72], v[71:72], -v[77:78]
	;; [unrolled: 2-line block ×3, first 2 shown]
	v_mul_f64 v[87:88], v[95:96], s[26:27]
	v_mul_f64 v[93:94], v[101:102], s[16:17]
	v_add_f64 v[45:46], v[91:92], v[57:58]
	v_add_f64 v[57:58], v[61:62], v[65:66]
	v_add_f64 v[61:62], v[61:62], -v[65:66]
	v_add_f64 v[65:66], v[69:70], v[75:76]
	v_add_f64 v[69:70], v[69:70], -v[75:76]
	;; [unrolled: 2-line block ×3, first 2 shown]
	v_fma_f64 v[55:56], v[97:98], s[0:1], v[105:106]
	v_fma_f64 v[89:90], v[97:98], s[18:19], -v[83:84]
	v_fma_f64 v[83:84], v[97:98], s[18:19], v[83:84]
	v_fma_f64 v[91:92], v[97:98], s[22:23], -v[85:86]
	v_fma_f64 v[85:86], v[97:98], s[22:23], v[85:86]
	v_mul_f64 v[95:96], v[101:102], s[2:3]
	v_fma_f64 v[105:106], v[97:98], s[24:25], -v[87:88]
	v_fma_f64 v[87:88], v[97:98], s[24:25], v[87:88]
	v_mul_f64 v[97:98], v[101:102], s[28:29]
	v_mul_f64 v[101:102], v[101:102], s[26:27]
	v_fma_f64 v[119:120], v[103:104], s[6:7], v[93:94]
	v_fma_f64 v[93:94], v[103:104], s[6:7], -v[93:94]
	v_fma_f64 v[123:124], v[103:104], s[18:19], v[117:118]
	v_fma_f64 v[121:122], v[103:104], s[0:1], v[95:96]
	v_fma_f64 v[95:96], v[103:104], s[0:1], -v[95:96]
	v_fma_f64 v[117:118], v[103:104], s[18:19], -v[117:118]
	v_fma_f64 v[125:126], v[103:104], s[22:23], v[97:98]
	v_fma_f64 v[97:98], v[103:104], s[22:23], -v[97:98]
	v_fma_f64 v[127:128], v[103:104], s[24:25], v[101:102]
	v_fma_f64 v[101:102], v[103:104], s[24:25], -v[101:102]
	v_add_f64 v[103:104], v[49:50], v[107:108]
	v_add_f64 v[107:108], v[51:52], v[119:120]
	v_mul_f64 v[119:120], v[63:64], s[2:3]
	v_mul_f64 v[129:130], v[61:62], s[2:3]
	v_add_f64 v[131:132], v[49:50], v[55:56]
	v_mul_f64 v[135:136], v[71:72], s[20:21]
	v_mul_f64 v[137:138], v[69:70], s[20:21]
	v_add_f64 v[99:100], v[49:50], v[99:100]
	v_add_f64 v[139:140], v[49:50], v[83:84]
	;; [unrolled: 1-line block ×3, first 2 shown]
	v_fma_f64 v[55:56], v[57:58], s[0:1], -v[119:120]
	v_fma_f64 v[133:134], v[59:60], s[0:1], v[129:130]
	v_add_f64 v[143:144], v[49:50], v[85:86]
	v_fma_f64 v[91:92], v[65:66], s[18:19], -v[135:136]
	v_fma_f64 v[85:86], v[57:58], s[0:1], v[119:120]
	v_add_f64 v[93:94], v[51:52], v[93:94]
	v_add_f64 v[53:54], v[49:50], v[53:54]
	;; [unrolled: 1-line block ×5, first 2 shown]
	v_fma_f64 v[103:104], v[67:68], s[18:19], v[137:138]
	v_mul_f64 v[107:108], v[81:82], s[28:29]
	v_mul_f64 v[133:134], v[79:80], s[28:29]
	v_add_f64 v[85:86], v[85:86], v[99:100]
	v_fma_f64 v[99:100], v[59:60], s[0:1], -v[129:130]
	v_fma_f64 v[129:130], v[65:66], s[18:19], v[135:136]
	v_add_f64 v[55:56], v[91:92], v[55:56]
	v_add_f64 v[105:106], v[49:50], v[105:106]
	;; [unrolled: 1-line block ×3, first 2 shown]
	v_fma_f64 v[91:92], v[77:78], s[22:23], -v[107:108]
	v_fma_f64 v[103:104], v[75:76], s[22:23], v[133:134]
	v_add_f64 v[135:136], v[49:50], v[87:88]
	v_add_f64 v[93:94], v[99:100], v[93:94]
	;; [unrolled: 1-line block ×3, first 2 shown]
	v_fma_f64 v[99:100], v[67:68], s[18:19], -v[137:138]
	v_add_f64 v[121:122], v[51:52], v[121:122]
	v_add_f64 v[119:120], v[51:52], v[127:128]
	;; [unrolled: 1-line block ×4, first 2 shown]
	v_fma_f64 v[103:104], v[77:78], s[22:23], v[107:108]
	v_mul_f64 v[107:108], v[61:62], s[28:29]
	v_mul_f64 v[83:84], v[63:64], s[28:29]
	v_add_f64 v[93:94], v[99:100], v[93:94]
	v_mul_f64 v[127:128], v[109:110], s[26:27]
	v_mul_f64 v[91:92], v[111:112], s[26:27]
	;; [unrolled: 1-line block ×3, first 2 shown]
	v_fma_f64 v[133:134], v[75:76], s[22:23], -v[133:134]
	v_add_f64 v[85:86], v[103:104], v[85:86]
	v_fma_f64 v[99:100], v[59:60], s[22:23], v[107:108]
	v_mul_f64 v[103:104], v[69:70], s[36:37]
	v_fma_f64 v[129:130], v[57:58], s[22:23], -v[83:84]
	v_mul_f64 v[149:150], v[79:80], s[30:31]
	v_fma_f64 v[87:88], v[113:114], s[24:25], -v[127:128]
	v_fma_f64 v[145:146], v[115:116], s[24:25], v[91:92]
	v_mul_f64 v[147:148], v[81:82], s[30:31]
	v_add_f64 v[93:94], v[133:134], v[93:94]
	v_add_f64 v[99:100], v[99:100], v[121:122]
	v_fma_f64 v[121:122], v[67:68], s[24:25], v[103:104]
	v_add_f64 v[53:54], v[129:130], v[53:54]
	v_fma_f64 v[129:130], v[65:66], s[24:25], -v[137:138]
	v_fma_f64 v[91:92], v[115:116], s[24:25], -v[91:92]
	v_add_f64 v[95:96], v[51:52], v[95:96]
	v_add_f64 v[123:124], v[51:52], v[123:124]
	;; [unrolled: 1-line block ×5, first 2 shown]
	v_fma_f64 v[121:122], v[75:76], s[18:19], v[149:150]
	v_add_f64 v[97:98], v[51:52], v[97:98]
	v_fma_f64 v[127:128], v[113:114], s[24:25], v[127:128]
	v_add_f64 v[129:130], v[129:130], v[53:54]
	v_fma_f64 v[133:134], v[77:78], s[18:19], -v[147:148]
	v_add_f64 v[101:102], v[51:52], v[101:102]
	v_add_f64 v[49:50], v[87:88], v[49:50]
	;; [unrolled: 1-line block ×4, first 2 shown]
	v_fma_f64 v[83:84], v[57:58], s[22:23], v[83:84]
	v_fma_f64 v[87:88], v[59:60], s[22:23], -v[107:108]
	v_add_f64 v[91:92], v[121:122], v[99:100]
	v_mul_f64 v[93:94], v[63:64], s[36:37]
	v_mul_f64 v[99:100], v[61:62], s[36:37]
	s_mov_b32 s3, 0x3fed1bb4
	v_add_f64 v[53:54], v[127:128], v[85:86]
	v_add_f64 v[85:86], v[133:134], v[129:130]
	;; [unrolled: 1-line block ×4, first 2 shown]
	v_fma_f64 v[95:96], v[65:66], s[24:25], v[137:138]
	v_fma_f64 v[103:104], v[67:68], s[24:25], -v[103:104]
	v_fma_f64 v[127:128], v[57:58], s[24:25], -v[93:94]
	v_fma_f64 v[129:130], v[59:60], s[24:25], v[99:100]
	v_mul_f64 v[131:132], v[71:72], s[2:3]
	v_mul_f64 v[133:134], v[69:70], s[2:3]
	;; [unrolled: 1-line block ×4, first 2 shown]
	v_add_f64 v[83:84], v[95:96], v[83:84]
	v_add_f64 v[87:88], v[103:104], v[87:88]
	v_fma_f64 v[95:96], v[77:78], s[18:19], v[147:148]
	v_fma_f64 v[103:104], v[75:76], s[18:19], -v[149:150]
	v_add_f64 v[89:90], v[127:128], v[89:90]
	v_add_f64 v[123:124], v[129:130], v[123:124]
	v_fma_f64 v[127:128], v[65:66], s[0:1], -v[131:132]
	v_fma_f64 v[129:130], v[67:68], s[0:1], v[133:134]
	v_mul_f64 v[137:138], v[81:82], s[16:17]
	v_mul_f64 v[145:146], v[79:80], s[16:17]
	v_fma_f64 v[147:148], v[113:114], s[6:7], -v[107:108]
	v_fma_f64 v[149:150], v[115:116], s[6:7], v[121:122]
	v_add_f64 v[95:96], v[95:96], v[83:84]
	v_add_f64 v[103:104], v[103:104], v[87:88]
	;; [unrolled: 1-line block ×4, first 2 shown]
	v_fma_f64 v[123:124], v[77:78], s[6:7], -v[137:138]
	v_fma_f64 v[127:128], v[75:76], s[6:7], v[145:146]
	v_mul_f64 v[129:130], v[109:110], s[28:29]
	v_fma_f64 v[107:108], v[113:114], s[6:7], v[107:108]
	v_fma_f64 v[121:122], v[115:116], s[6:7], -v[121:122]
	v_add_f64 v[83:84], v[147:148], v[85:86]
	v_add_f64 v[85:86], v[149:150], v[91:92]
	v_fma_f64 v[147:148], v[115:116], s[22:23], v[151:152]
	v_add_f64 v[91:92], v[123:124], v[87:88]
	v_add_f64 v[123:124], v[127:128], v[89:90]
	v_fma_f64 v[127:128], v[113:114], s[22:23], -v[129:130]
	v_add_f64 v[87:88], v[107:108], v[95:96]
	v_add_f64 v[89:90], v[121:122], v[103:104]
	v_fma_f64 v[99:100], v[59:60], s[24:25], -v[99:100]
	v_mul_f64 v[103:104], v[63:64], s[30:31]
	v_mul_f64 v[107:108], v[61:62], s[30:31]
	;; [unrolled: 1-line block ×4, first 2 shown]
	v_fma_f64 v[95:96], v[57:58], s[24:25], v[93:94]
	v_add_f64 v[91:92], v[127:128], v[91:92]
	v_add_f64 v[93:94], v[147:148], v[123:124]
	;; [unrolled: 1-line block ×3, first 2 shown]
	v_fma_f64 v[117:118], v[57:58], s[18:19], -v[103:104]
	v_fma_f64 v[121:122], v[59:60], s[18:19], v[107:108]
	v_fma_f64 v[107:108], v[59:60], s[18:19], -v[107:108]
	v_fma_f64 v[123:124], v[57:58], s[6:7], -v[63:64]
	v_fma_f64 v[127:128], v[59:60], s[6:7], v[61:62]
	v_add_f64 v[95:96], v[95:96], v[139:140]
	v_fma_f64 v[103:104], v[57:58], s[18:19], v[103:104]
	v_fma_f64 v[57:58], v[57:58], s[6:7], v[63:64]
	v_fma_f64 v[59:60], v[59:60], s[6:7], -v[61:62]
	v_add_f64 v[61:62], v[117:118], v[141:142]
	v_add_f64 v[63:64], v[121:122], v[125:126]
	;; [unrolled: 1-line block ×5, first 2 shown]
	v_fma_f64 v[117:118], v[65:66], s[0:1], v[131:132]
	v_fma_f64 v[119:120], v[67:68], s[0:1], -v[133:134]
	v_mul_f64 v[121:122], v[71:72], s[16:17]
	v_mul_f64 v[123:124], v[69:70], s[16:17]
	;; [unrolled: 1-line block ×4, first 2 shown]
	v_add_f64 v[103:104], v[103:104], v[143:144]
	v_add_f64 v[57:58], v[57:58], v[135:136]
	v_add_f64 v[59:60], v[59:60], v[101:102]
	v_add_f64 v[95:96], v[117:118], v[95:96]
	v_add_f64 v[99:100], v[119:120], v[99:100]
	v_fma_f64 v[101:102], v[65:66], s[6:7], -v[121:122]
	v_fma_f64 v[117:118], v[67:68], s[6:7], v[123:124]
	v_fma_f64 v[119:120], v[65:66], s[6:7], v[121:122]
	v_fma_f64 v[121:122], v[67:68], s[6:7], -v[123:124]
	v_fma_f64 v[123:124], v[65:66], s[22:23], -v[71:72]
	v_fma_f64 v[125:126], v[67:68], s[22:23], v[69:70]
	v_fma_f64 v[65:66], v[65:66], s[22:23], v[71:72]
	v_fma_f64 v[67:68], v[67:68], s[22:23], -v[69:70]
	v_add_f64 v[61:62], v[101:102], v[61:62]
	v_add_f64 v[63:64], v[117:118], v[63:64]
	;; [unrolled: 1-line block ×5, first 2 shown]
	v_mul_f64 v[103:104], v[81:82], s[26:27]
	v_mul_f64 v[105:106], v[79:80], s[26:27]
	v_add_f64 v[57:58], v[65:66], v[57:58]
	v_fma_f64 v[65:66], v[77:78], s[6:7], v[137:138]
	v_add_f64 v[59:60], v[67:68], v[59:60]
	v_fma_f64 v[67:68], v[75:76], s[6:7], -v[145:146]
	v_mul_f64 v[81:82], v[81:82], s[2:3]
	v_mul_f64 v[79:80], v[79:80], s[2:3]
	v_add_f64 v[101:102], v[125:126], v[107:108]
	v_fma_f64 v[107:108], v[77:78], s[24:25], -v[103:104]
	v_fma_f64 v[103:104], v[77:78], s[24:25], v[103:104]
	v_add_f64 v[65:66], v[65:66], v[95:96]
	v_fma_f64 v[95:96], v[75:76], s[24:25], -v[105:106]
	v_add_f64 v[67:68], v[67:68], v[99:100]
	v_fma_f64 v[99:100], v[77:78], s[0:1], -v[81:82]
	v_fma_f64 v[117:118], v[75:76], s[24:25], v[105:106]
	v_fma_f64 v[105:106], v[75:76], s[0:1], v[79:80]
	v_fma_f64 v[75:76], v[75:76], s[0:1], -v[79:80]
	v_add_f64 v[69:70], v[103:104], v[69:70]
	v_fma_f64 v[77:78], v[77:78], s[0:1], v[81:82]
	v_add_f64 v[71:72], v[95:96], v[71:72]
	v_fma_f64 v[95:96], v[113:114], s[22:23], v[129:130]
	v_add_f64 v[79:80], v[99:100], v[97:98]
	v_fma_f64 v[97:98], v[115:116], s[22:23], -v[151:152]
	v_mul_f64 v[99:100], v[109:110], s[2:3]
	v_mul_f64 v[103:104], v[111:112], s[2:3]
	v_add_f64 v[81:82], v[105:106], v[101:102]
	v_mul_f64 v[101:102], v[109:110], s[20:21]
	v_add_f64 v[105:106], v[75:76], v[59:60]
	;; [unrolled: 2-line block ×3, first 2 shown]
	v_add_f64 v[63:64], v[117:118], v[63:64]
	v_add_f64 v[77:78], v[77:78], v[57:58]
	;; [unrolled: 1-line block ×4, first 2 shown]
	v_fma_f64 v[65:66], v[113:114], s[0:1], -v[99:100]
	v_fma_f64 v[97:98], v[115:116], s[0:1], v[103:104]
	v_fma_f64 v[67:68], v[113:114], s[0:1], v[99:100]
	v_fma_f64 v[95:96], v[113:114], s[18:19], -v[101:102]
	v_fma_f64 v[99:100], v[113:114], s[18:19], v[101:102]
	v_fma_f64 v[101:102], v[115:116], s[0:1], -v[103:104]
	;; [unrolled: 2-line block ×3, first 2 shown]
	v_add_f64 v[61:62], v[65:66], v[61:62]
	v_add_f64 v[63:64], v[97:98], v[63:64]
	;; [unrolled: 1-line block ×8, first 2 shown]
	v_mul_u32_u24_e32 v79, 11, v230
	v_add_lshl_u32 v233, v210, v79, 4
	ds_write_b128 v233, v[45:48]
	ds_write_b128 v233, v[49:52] offset:16
	ds_write_b128 v233, v[83:86] offset:32
	;; [unrolled: 1-line block ×10, first 2 shown]
	s_waitcnt lgkmcnt(0)
	; wave barrier
	s_waitcnt lgkmcnt(0)
	ds_read_b128 v[69:72], v231
	ds_read_b128 v[65:68], v0 offset:512
	ds_read_b128 v[93:96], v0 offset:3328
	;; [unrolled: 1-line block ×9, first 2 shown]
	s_mov_b64 s[0:1], 0xb0
	v_cmp_gt_u64_e32 vcc, s[0:1], v[73:74]
                                        ; implicit-def: $vgpr113_vgpr114
	s_and_saveexec_b64 s[0:1], vcc
	s_cbranch_execz .LBB0_3
; %bb.2:
	ds_read_b128 v[53:56], v0 offset:2560
	ds_read_b128 v[113:116], v0 offset:5376
.LBB0_3:
	s_or_b64 exec, exec, s[0:1]
	v_mul_lo_u16_e32 v45, 24, v230
	v_or_b32_e32 v74, 0x80, v230
	v_lshrrev_b16_e32 v117, 8, v45
	v_mul_lo_u16_e32 v75, 0x75, v74
	v_mul_lo_u16_e32 v45, 11, v117
	v_sub_u16_sdwa v76, v74, v75 dst_sel:DWORD dst_unused:UNUSED_PAD src0_sel:DWORD src1_sel:BYTE_1
	v_sub_u16_e32 v118, v230, v45
	v_or_b32_e32 v45, 32, v230
	v_lshrrev_b16_e32 v76, 1, v76
	v_mul_lo_u16_e32 v46, 47, v45
	v_and_b32_e32 v76, 0x7f, v76
	v_lshrrev_b16_e32 v119, 9, v46
	v_add_u16_sdwa v75, v76, v75 dst_sel:DWORD dst_unused:UNUSED_PAD src0_sel:DWORD src1_sel:BYTE_1
	v_mov_b32_e32 v77, 4
	v_mul_lo_u16_e32 v46, 11, v119
	v_lshrrev_b16_e32 v75, 3, v75
	v_lshlrev_b32_sdwa v57, v77, v118 dst_sel:DWORD dst_unused:UNUSED_PAD src0_sel:DWORD src1_sel:BYTE_0
	v_sub_u16_e32 v120, v45, v46
	v_and_b32_e32 v141, 31, v75
	v_lshlrev_b32_sdwa v58, v77, v120 dst_sel:DWORD dst_unused:UNUSED_PAD src0_sel:DWORD src1_sel:BYTE_0
	global_load_dwordx4 v[49:52], v57, s[14:15]
	global_load_dwordx4 v[45:48], v58, s[14:15]
	v_or_b32_e32 v57, 64, v230
	v_mul_lo_u16_e32 v75, 11, v141
	v_mul_lo_u16_e32 v58, 0xbb, v57
	v_sub_u16_e32 v142, v74, v75
	v_mul_lo_u16_e32 v75, 0x75, v73
	v_lshrrev_b16_e32 v121, 11, v58
	v_sub_u16_sdwa v76, v73, v75 dst_sel:DWORD dst_unused:UNUSED_PAD src0_sel:DWORD src1_sel:BYTE_1
	v_mul_lo_u16_e32 v58, 11, v121
	v_lshrrev_b16_e32 v76, 1, v76
	v_sub_u16_e32 v122, v57, v58
	v_or_b32_e32 v58, 0x60, v230
	v_and_b32_e32 v76, 0x7f, v76
	v_mul_lo_u16_e32 v59, 0xbb, v58
	v_add_u16_sdwa v75, v76, v75 dst_sel:DWORD dst_unused:UNUSED_PAD src0_sel:DWORD src1_sel:BYTE_1
	v_lshrrev_b16_e32 v123, 11, v59
	v_lshrrev_b16_e32 v143, 3, v75
	v_mul_lo_u16_e32 v59, 11, v123
	v_mul_lo_u16_e32 v75, 11, v143
	v_sub_u16_e32 v124, v58, v59
	v_sub_u16_e32 v232, v73, v75
	v_lshlrev_b32_sdwa v57, v77, v122 dst_sel:DWORD dst_unused:UNUSED_PAD src0_sel:DWORD src1_sel:BYTE_0
	v_lshlrev_b32_sdwa v58, v77, v124 dst_sel:DWORD dst_unused:UNUSED_PAD src0_sel:DWORD src1_sel:BYTE_0
	;; [unrolled: 1-line block ×4, first 2 shown]
	global_load_dwordx4 v[61:64], v57, s[14:15]
	s_nop 0
	global_load_dwordx4 v[57:60], v58, s[14:15]
	v_mad_legacy_u16 v117, v117, 22, v118
	global_load_dwordx4 v[73:76], v74, s[14:15]
	v_mul_u32_u24_e32 v121, 22, v121
	global_load_dwordx4 v[77:80], v77, s[14:15]
	v_mul_u32_u24_e32 v123, 22, v123
	v_and_b32_e32 v117, 0xff, v117
	v_mad_legacy_u16 v118, v119, 22, v120
	v_add_u32_sdwa v119, v121, v122 dst_sel:DWORD dst_unused:UNUSED_PAD src0_sel:DWORD src1_sel:BYTE_0
	v_add_u32_sdwa v120, v123, v124 dst_sel:DWORD dst_unused:UNUSED_PAD src0_sel:DWORD src1_sel:BYTE_0
	v_add_lshl_u32 v237, v210, v117, 4
	v_and_b32_e32 v117, 0xff, v118
	v_add_lshl_u32 v235, v210, v119, 4
	v_add_lshl_u32 v234, v210, v120, 4
	;; [unrolled: 1-line block ×3, first 2 shown]
	v_mul_u32_u24_e32 v239, 22, v143
	s_waitcnt lgkmcnt(0)
	; wave barrier
	s_waitcnt vmcnt(5) lgkmcnt(0)
	v_mul_f64 v[117:118], v[111:112], v[51:52]
	v_mul_f64 v[119:120], v[109:110], v[51:52]
	s_waitcnt vmcnt(4)
	v_mul_f64 v[121:122], v[95:96], v[47:48]
	v_mul_f64 v[123:124], v[93:94], v[47:48]
	v_fma_f64 v[109:110], v[109:110], v[49:50], -v[117:118]
	v_fma_f64 v[111:112], v[111:112], v[49:50], v[119:120]
	v_fma_f64 v[117:118], v[93:94], v[45:46], -v[121:122]
	v_fma_f64 v[119:120], v[95:96], v[45:46], v[123:124]
	v_add_f64 v[93:94], v[69:70], -v[109:110]
	v_add_f64 v[95:96], v[71:72], -v[111:112]
	s_waitcnt vmcnt(3)
	v_mul_f64 v[125:126], v[99:100], v[63:64]
	v_mul_f64 v[127:128], v[97:98], v[63:64]
	s_waitcnt vmcnt(2)
	v_mul_f64 v[129:130], v[107:108], v[59:60]
	v_mul_f64 v[131:132], v[105:106], v[59:60]
	;; [unrolled: 3-line block ×4, first 2 shown]
	v_fma_f64 v[97:98], v[97:98], v[61:62], -v[125:126]
	v_fma_f64 v[99:100], v[99:100], v[61:62], v[127:128]
	v_fma_f64 v[105:106], v[105:106], v[57:58], -v[129:130]
	v_fma_f64 v[107:108], v[107:108], v[57:58], v[131:132]
	;; [unrolled: 2-line block ×4, first 2 shown]
	v_add_f64 v[101:102], v[65:66], -v[117:118]
	v_add_f64 v[103:104], v[67:68], -v[119:120]
	;; [unrolled: 1-line block ×10, first 2 shown]
	v_fma_f64 v[129:130], v[69:70], 2.0, -v[93:94]
	v_fma_f64 v[131:132], v[71:72], 2.0, -v[95:96]
	;; [unrolled: 1-line block ×12, first 2 shown]
	v_mov_b32_e32 v53, 22
	v_mul_u32_u24_sdwa v53, v141, v53 dst_sel:DWORD dst_unused:UNUSED_PAD src0_sel:WORD_0 src1_sel:DWORD
	v_add_u32_sdwa v53, v53, v142 dst_sel:DWORD dst_unused:UNUSED_PAD src0_sel:DWORD src1_sel:BYTE_0
	v_add_lshl_u32 v238, v210, v53, 4
	ds_write_b128 v237, v[93:96] offset:176
	ds_write_b128 v237, v[129:132]
	ds_write_b128 v236, v[101:104] offset:176
	ds_write_b128 v236, v[69:72]
	ds_write_b128 v235, v[85:88]
	ds_write_b128 v235, v[97:100] offset:176
	ds_write_b128 v234, v[109:112]
	ds_write_b128 v234, v[105:108] offset:176
	;; [unrolled: 2-line block ×3, first 2 shown]
	s_and_saveexec_b64 s[0:1], vcc
	s_cbranch_execz .LBB0_5
; %bb.4:
	v_add_u32_sdwa v53, v239, v232 dst_sel:DWORD dst_unused:UNUSED_PAD src0_sel:DWORD src1_sel:BYTE_0
	v_add_lshl_u32 v53, v210, v53, 4
	ds_write_b128 v53, v[125:128]
	ds_write_b128 v53, v[121:124] offset:176
.LBB0_5:
	s_or_b64 exec, exec, s[0:1]
	v_cmp_gt_u32_e64 s[0:1], 22, v230
	s_waitcnt lgkmcnt(0)
	; wave barrier
	s_waitcnt lgkmcnt(0)
                                        ; implicit-def: $vgpr133_vgpr134
                                        ; implicit-def: $vgpr137_vgpr138
                                        ; implicit-def: $vgpr141_vgpr142
                                        ; implicit-def: $vgpr145_vgpr146
	s_and_saveexec_b64 s[2:3], s[0:1]
	s_cbranch_execz .LBB0_7
; %bb.6:
	ds_read_b128 v[129:132], v231
	ds_read_b128 v[93:96], v0 offset:352
	ds_read_b128 v[69:72], v0 offset:704
	;; [unrolled: 1-line block ×15, first 2 shown]
.LBB0_7:
	s_or_b64 exec, exec, s[2:3]
	v_subrev_u32_e32 v53, 22, v230
	v_cndmask_b32_e64 v53, v53, v230, s[0:1]
	v_mul_hi_i32_i24_e32 v54, 0xf0, v53
	v_mul_i32_i24_e32 v53, 0xf0, v53
	v_add_co_u32_e64 v169, s[2:3], s14, v53
	v_mov_b32_e32 v53, s15
	v_addc_co_u32_e64 v170, s[2:3], v53, v54, s[2:3]
	global_load_dwordx4 v[53:56], v[169:170], off offset:224
	global_load_dwordx4 v[65:68], v[169:170], off offset:208
	;; [unrolled: 1-line block ×4, first 2 shown]
	s_mov_b32 s2, 0x667f3bcd
	s_mov_b32 s3, 0xbfe6a09e
	;; [unrolled: 1-line block ×12, first 2 shown]
	s_waitcnt vmcnt(0) lgkmcnt(14)
	v_mul_f64 v[149:150], v[95:96], v[83:84]
	v_fma_f64 v[153:154], v[93:94], v[81:82], -v[149:150]
	v_mul_f64 v[93:94], v[93:94], v[83:84]
	v_fma_f64 v[155:156], v[95:96], v[81:82], v[93:94]
	s_waitcnt lgkmcnt(13)
	v_mul_f64 v[93:94], v[71:72], v[91:92]
	v_fma_f64 v[157:158], v[69:70], v[89:90], -v[93:94]
	v_mul_f64 v[69:70], v[69:70], v[91:92]
	v_fma_f64 v[159:160], v[71:72], v[89:90], v[69:70]
	s_waitcnt lgkmcnt(12)
	;; [unrolled: 5-line block ×3, first 2 shown]
	v_mul_f64 v[69:70], v[87:88], v[55:56]
	v_fma_f64 v[161:162], v[85:86], v[53:54], -v[69:70]
	v_mul_f64 v[69:70], v[85:86], v[55:56]
	v_fma_f64 v[163:164], v[87:88], v[53:54], v[69:70]
	global_load_dwordx4 v[69:72], v[169:170], off offset:288
	global_load_dwordx4 v[85:88], v[169:170], off offset:272
	;; [unrolled: 1-line block ×4, first 2 shown]
	s_waitcnt vmcnt(0) lgkmcnt(10)
	v_mul_f64 v[165:166], v[99:100], v[103:104]
	v_fma_f64 v[171:172], v[97:98], v[101:102], -v[165:166]
	v_mul_f64 v[97:98], v[97:98], v[103:104]
	v_fma_f64 v[173:174], v[99:100], v[101:102], v[97:98]
	s_waitcnt lgkmcnt(9)
	v_mul_f64 v[97:98], v[111:112], v[95:96]
	v_fma_f64 v[175:176], v[109:110], v[93:94], -v[97:98]
	v_mul_f64 v[97:98], v[109:110], v[95:96]
	v_fma_f64 v[177:178], v[111:112], v[93:94], v[97:98]
	s_waitcnt lgkmcnt(8)
	;; [unrolled: 5-line block ×3, first 2 shown]
	v_mul_f64 v[97:98], v[115:116], v[71:72]
	v_fma_f64 v[179:180], v[113:114], v[69:70], -v[97:98]
	v_mul_f64 v[97:98], v[113:114], v[71:72]
	v_fma_f64 v[181:182], v[115:116], v[69:70], v[97:98]
	global_load_dwordx4 v[97:100], v[169:170], off offset:352
	global_load_dwordx4 v[105:108], v[169:170], off offset:336
	global_load_dwordx4 v[109:112], v[169:170], off offset:320
	global_load_dwordx4 v[113:116], v[169:170], off offset:304
	s_waitcnt vmcnt(0) lgkmcnt(6)
	v_mul_f64 v[183:184], v[119:120], v[115:116]
	v_fma_f64 v[183:184], v[117:118], v[113:114], -v[183:184]
	v_mul_f64 v[117:118], v[117:118], v[115:116]
	v_add_f64 v[183:184], v[153:154], -v[183:184]
	v_fma_f64 v[185:186], v[119:120], v[113:114], v[117:118]
	s_waitcnt lgkmcnt(5)
	v_mul_f64 v[117:118], v[127:128], v[111:112]
	v_fma_f64 v[198:199], v[153:154], 2.0, -v[183:184]
	v_add_f64 v[185:186], v[155:156], -v[185:186]
	v_fma_f64 v[187:188], v[125:126], v[109:110], -v[117:118]
	v_mul_f64 v[117:118], v[125:126], v[111:112]
	v_fma_f64 v[200:201], v[155:156], 2.0, -v[185:186]
	v_fma_f64 v[189:190], v[127:128], v[109:110], v[117:118]
	s_waitcnt lgkmcnt(4)
	v_mul_f64 v[117:118], v[123:124], v[107:108]
	v_fma_f64 v[191:192], v[121:122], v[105:106], -v[117:118]
	v_mul_f64 v[117:118], v[121:122], v[107:108]
	v_add_f64 v[191:192], v[149:150], -v[191:192]
	v_fma_f64 v[194:195], v[123:124], v[105:106], v[117:118]
	s_waitcnt lgkmcnt(3)
	v_mul_f64 v[117:118], v[147:148], v[99:100]
	v_fma_f64 v[202:203], v[149:150], 2.0, -v[191:192]
	v_add_f64 v[194:195], v[151:152], -v[194:195]
	v_fma_f64 v[196:197], v[145:146], v[97:98], -v[117:118]
	v_mul_f64 v[117:118], v[145:146], v[99:100]
	v_fma_f64 v[204:205], v[151:152], 2.0, -v[194:195]
	v_fma_f64 v[145:146], v[147:148], v[97:98], v[117:118]
	global_load_dwordx4 v[117:120], v[169:170], off offset:400
	global_load_dwordx4 v[121:124], v[169:170], off offset:384
	;; [unrolled: 1-line block ×3, first 2 shown]
	v_add_f64 v[169:170], v[131:132], -v[181:182]
	v_add_f64 v[181:182], v[157:158], -v[187:188]
	;; [unrolled: 1-line block ×4, first 2 shown]
	v_fma_f64 v[131:132], v[131:132], 2.0, -v[169:170]
	v_fma_f64 v[189:190], v[157:158], 2.0, -v[181:182]
	;; [unrolled: 1-line block ×3, first 2 shown]
	s_waitcnt vmcnt(0) lgkmcnt(2)
	v_mul_f64 v[147:148], v[143:144], v[127:128]
	v_fma_f64 v[147:148], v[141:142], v[125:126], -v[147:148]
	v_mul_f64 v[141:142], v[141:142], v[127:128]
	v_add_f64 v[147:148], v[171:172], -v[147:148]
	v_fma_f64 v[141:142], v[143:144], v[125:126], v[141:142]
	s_waitcnt lgkmcnt(1)
	v_mul_f64 v[143:144], v[139:140], v[123:124]
	v_fma_f64 v[171:172], v[171:172], 2.0, -v[147:148]
	v_add_f64 v[141:142], v[173:174], -v[141:142]
	v_fma_f64 v[143:144], v[137:138], v[121:122], -v[143:144]
	v_mul_f64 v[137:138], v[137:138], v[123:124]
	v_add_f64 v[147:148], v[185:186], v[147:148]
	v_fma_f64 v[173:174], v[173:174], 2.0, -v[141:142]
	v_add_f64 v[143:144], v[175:176], -v[143:144]
	v_fma_f64 v[137:138], v[139:140], v[121:122], v[137:138]
	s_waitcnt lgkmcnt(0)
	v_mul_f64 v[139:140], v[135:136], v[119:120]
	v_add_f64 v[141:142], v[183:184], -v[141:142]
	v_fma_f64 v[175:176], v[175:176], 2.0, -v[143:144]
	v_add_f64 v[137:138], v[177:178], -v[137:138]
	v_fma_f64 v[139:140], v[133:134], v[117:118], -v[139:140]
	v_mul_f64 v[133:134], v[133:134], v[119:120]
	v_add_f64 v[143:144], v[187:188], v[143:144]
	v_fma_f64 v[177:178], v[177:178], 2.0, -v[137:138]
	v_add_f64 v[137:138], v[181:182], -v[137:138]
	v_fma_f64 v[133:134], v[135:136], v[117:118], v[133:134]
	v_add_f64 v[135:136], v[129:130], -v[179:180]
	v_add_f64 v[179:180], v[161:162], -v[196:197]
	v_fma_f64 v[196:197], v[159:160], 2.0, -v[187:188]
	v_add_f64 v[159:160], v[131:132], -v[163:164]
	v_add_f64 v[139:140], v[165:166], -v[139:140]
	v_fma_f64 v[187:188], v[187:188], 2.0, -v[143:144]
	v_fma_f64 v[181:182], v[181:182], 2.0, -v[137:138]
	v_add_f64 v[133:134], v[167:168], -v[133:134]
	v_fma_f64 v[129:130], v[129:130], 2.0, -v[135:136]
	v_fma_f64 v[161:162], v[161:162], 2.0, -v[179:180]
	;; [unrolled: 1-line block ×3, first 2 shown]
	v_add_f64 v[131:132], v[169:170], v[179:180]
	v_fma_f64 v[211:212], v[165:166], 2.0, -v[139:140]
	v_add_f64 v[165:166], v[198:199], -v[171:172]
	v_fma_f64 v[167:168], v[167:168], 2.0, -v[133:134]
	v_add_f64 v[133:134], v[191:192], -v[133:134]
	v_add_f64 v[153:154], v[129:130], -v[161:162]
	v_add_f64 v[139:140], v[194:195], v[139:140]
	v_fma_f64 v[157:158], v[169:170], 2.0, -v[131:132]
	v_fma_f64 v[169:170], v[183:184], 2.0, -v[141:142]
	v_add_f64 v[211:212], v[202:203], -v[211:212]
	v_fma_f64 v[161:162], v[198:199], 2.0, -v[165:166]
	v_fma_f64 v[149:150], v[129:130], 2.0, -v[153:154]
	v_add_f64 v[129:130], v[135:136], -v[145:146]
	v_add_f64 v[145:146], v[196:197], -v[177:178]
	;; [unrolled: 1-line block ×3, first 2 shown]
	v_fma_f64 v[213:214], v[194:195], 2.0, -v[139:140]
	v_fma_f64 v[198:199], v[202:203], 2.0, -v[211:212]
	;; [unrolled: 1-line block ×3, first 2 shown]
	v_add_f64 v[135:136], v[189:190], -v[175:176]
	v_fma_f64 v[163:164], v[200:201], 2.0, -v[177:178]
	v_add_f64 v[200:201], v[204:205], -v[167:168]
	v_fma_f64 v[175:176], v[185:186], 2.0, -v[147:148]
	v_fma_f64 v[171:172], v[181:182], s[2:3], v[155:156]
	v_fma_f64 v[179:180], v[189:190], 2.0, -v[135:136]
	v_fma_f64 v[189:190], v[196:197], 2.0, -v[145:146]
	;; [unrolled: 1-line block ×4, first 2 shown]
	v_add_f64 v[191:192], v[161:162], -v[198:199]
	v_add_f64 v[200:201], v[165:166], -v[200:201]
	v_fma_f64 v[171:172], v[187:188], s[2:3], v[171:172]
	v_add_f64 v[167:168], v[149:150], -v[179:180]
	v_fma_f64 v[179:180], v[187:188], s[2:3], v[157:158]
	v_add_f64 v[187:188], v[159:160], v[135:136]
	v_fma_f64 v[135:136], v[137:138], s[6:7], v[129:130]
	v_add_f64 v[173:174], v[151:152], -v[189:190]
	v_add_f64 v[194:195], v[163:164], -v[202:203]
	v_fma_f64 v[183:184], v[181:182], s[6:7], v[179:180]
	v_add_f64 v[179:180], v[153:154], -v[145:146]
	v_fma_f64 v[145:146], v[143:144], s[6:7], v[131:132]
	v_fma_f64 v[181:182], v[143:144], s[2:3], v[135:136]
	;; [unrolled: 1-line block ×3, first 2 shown]
	v_fma_f64 v[185:186], v[129:130], 2.0, -v[181:182]
	v_fma_f64 v[129:130], v[204:205], s[2:3], v[169:170]
	v_fma_f64 v[189:190], v[131:132], 2.0, -v[196:197]
	v_fma_f64 v[131:132], v[213:214], s[2:3], v[175:176]
	v_fma_f64 v[198:199], v[213:214], s[2:3], v[129:130]
	;; [unrolled: 1-line block ×6, first 2 shown]
	v_add_f64 v[204:205], v[177:178], v[211:212]
	v_fma_f64 v[137:138], v[133:134], s[6:7], v[131:132]
	v_fma_f64 v[129:130], v[141:142], 2.0, -v[139:140]
	v_fma_f64 v[141:142], v[200:201], s[6:7], v[179:180]
	v_fma_f64 v[143:144], v[204:205], s[6:7], v[187:188]
	;; [unrolled: 1-line block ×3, first 2 shown]
	v_fma_f64 v[131:132], v[147:148], 2.0, -v[137:138]
	v_fma_f64 v[133:134], v[129:130], s[16:17], v[185:186]
	v_fma_f64 v[213:214], v[137:138], s[14:15], v[196:197]
	;; [unrolled: 1-line block ×8, first 2 shown]
	v_add_f64 v[131:132], v[173:174], v[191:192]
	v_fma_f64 v[139:140], v[139:140], s[20:21], v[213:214]
	v_fma_f64 v[147:148], v[129:130], s[14:15], v[135:136]
	;; [unrolled: 1-line block ×3, first 2 shown]
	v_add_f64 v[129:130], v[167:168], -v[194:195]
	v_fma_f64 v[133:134], v[202:203], s[18:19], v[133:134]
	v_fma_f64 v[135:136], v[198:199], s[14:15], v[135:136]
	s_and_saveexec_b64 s[14:15], s[0:1]
	s_cbranch_execz .LBB0_9
; %bb.8:
	v_fma_f64 v[159:160], v[159:160], 2.0, -v[187:188]
	v_fma_f64 v[204:205], v[177:178], 2.0, -v[204:205]
	;; [unrolled: 1-line block ×9, first 2 shown]
	v_fma_f64 v[177:178], v[204:205], s[2:3], v[159:160]
	v_fma_f64 v[198:199], v[151:152], 2.0, -v[173:174]
	v_fma_f64 v[196:197], v[175:176], s[18:19], v[211:212]
	v_fma_f64 v[163:164], v[163:164], 2.0, -v[194:195]
	v_fma_f64 v[149:150], v[149:150], 2.0, -v[167:168]
	;; [unrolled: 1-line block ×3, first 2 shown]
	v_fma_f64 v[200:201], v[169:170], s[18:19], v[155:156]
	v_fma_f64 v[202:203], v[165:166], s[2:3], v[153:154]
	;; [unrolled: 1-line block ×3, first 2 shown]
	v_fma_f64 v[151:152], v[187:188], 2.0, -v[143:144]
	v_fma_f64 v[177:178], v[169:170], s[20:21], v[196:197]
	v_add_f64 v[196:197], v[198:199], -v[163:164]
	v_fma_f64 v[187:188], v[189:190], 2.0, -v[147:148]
	v_add_f64 v[194:195], v[149:150], -v[191:192]
	v_fma_f64 v[175:176], v[175:176], s[16:17], v[200:201]
	v_fma_f64 v[163:164], v[204:205], s[2:3], v[202:203]
	v_fma_f64 v[191:192], v[159:160], 2.0, -v[165:166]
	v_fma_f64 v[185:186], v[185:186], 2.0, -v[145:146]
	;; [unrolled: 1-line block ×13, first 2 shown]
	ds_write_b128 v231, v[202:205]
	ds_write_b128 v0, v[198:201] offset:352
	ds_write_b128 v0, v[189:192] offset:704
	;; [unrolled: 1-line block ×15, first 2 shown]
.LBB0_9:
	s_or_b64 exec, exec, s[14:15]
	s_add_u32 s2, s12, 0x1600
	s_addc_u32 s3, s13, 0
	s_waitcnt lgkmcnt(0)
	; wave barrier
	s_waitcnt lgkmcnt(0)
	global_load_dwordx4 v[153:156], v206, s[2:3]
	ds_read_b128 v[149:152], v231
	v_lshlrev_b32_e32 v241, 4, v210
	v_add_u32_e32 v240, v241, v206
	s_mov_b32 s20, 0xf8bb580b
	s_mov_b32 s21, 0xbfe14ced
	;; [unrolled: 1-line block ×27, first 2 shown]
	s_waitcnt vmcnt(0) lgkmcnt(0)
	v_mul_f64 v[157:158], v[151:152], v[155:156]
	v_fma_f64 v[157:158], v[149:150], v[153:154], -v[157:158]
	v_mul_f64 v[149:150], v[149:150], v[155:156]
	v_fma_f64 v[159:160], v[151:152], v[153:154], v[149:150]
	global_load_dwordx4 v[153:156], v206, s[2:3] offset:512
	ds_write_b128 v231, v[157:160]
	ds_read_b128 v[149:152], v0 offset:512
	s_waitcnt vmcnt(0) lgkmcnt(0)
	v_mul_f64 v[157:158], v[151:152], v[155:156]
	v_fma_f64 v[157:158], v[149:150], v[153:154], -v[157:158]
	v_mul_f64 v[149:150], v[149:150], v[155:156]
	v_fma_f64 v[159:160], v[151:152], v[153:154], v[149:150]
	global_load_dwordx4 v[153:156], v206, s[2:3] offset:1024
	ds_read_b128 v[149:152], v0 offset:1024
	ds_write_b128 v0, v[157:160] offset:512
	s_waitcnt vmcnt(0) lgkmcnt(1)
	v_mul_f64 v[157:158], v[151:152], v[155:156]
	v_fma_f64 v[157:158], v[149:150], v[153:154], -v[157:158]
	v_mul_f64 v[149:150], v[149:150], v[155:156]
	v_fma_f64 v[159:160], v[151:152], v[153:154], v[149:150]
	global_load_dwordx4 v[153:156], v206, s[2:3] offset:1536
	ds_read_b128 v[149:152], v0 offset:1536
	ds_write_b128 v0, v[157:160] offset:1024
	s_waitcnt vmcnt(0) lgkmcnt(1)
	v_mul_f64 v[157:158], v[151:152], v[155:156]
	v_fma_f64 v[157:158], v[149:150], v[153:154], -v[157:158]
	v_mul_f64 v[149:150], v[149:150], v[155:156]
	v_fma_f64 v[159:160], v[151:152], v[153:154], v[149:150]
	global_load_dwordx4 v[153:156], v206, s[2:3] offset:2048
	ds_read_b128 v[149:152], v0 offset:2048
	ds_write_b128 v0, v[157:160] offset:1536
	s_waitcnt vmcnt(0) lgkmcnt(1)
	v_mul_f64 v[157:158], v[151:152], v[155:156]
	v_fma_f64 v[157:158], v[149:150], v[153:154], -v[157:158]
	v_mul_f64 v[149:150], v[149:150], v[155:156]
	v_fma_f64 v[159:160], v[151:152], v[153:154], v[149:150]
	global_load_dwordx4 v[153:156], v206, s[2:3] offset:2560
	ds_read_b128 v[149:152], v240 offset:2560
	ds_write_b128 v0, v[157:160] offset:2048
	s_waitcnt vmcnt(0) lgkmcnt(1)
	v_mul_f64 v[157:158], v[151:152], v[155:156]
	v_fma_f64 v[157:158], v[149:150], v[153:154], -v[157:158]
	v_mul_f64 v[149:150], v[149:150], v[155:156]
	v_fma_f64 v[159:160], v[151:152], v[153:154], v[149:150]
	global_load_dwordx4 v[153:156], v206, s[2:3] offset:3072
	ds_read_b128 v[149:152], v0 offset:3072
	ds_write_b128 v240, v[157:160] offset:2560
	s_waitcnt vmcnt(0) lgkmcnt(1)
	v_mul_f64 v[157:158], v[151:152], v[155:156]
	v_fma_f64 v[157:158], v[149:150], v[153:154], -v[157:158]
	v_mul_f64 v[149:150], v[149:150], v[155:156]
	v_fma_f64 v[159:160], v[151:152], v[153:154], v[149:150]
	global_load_dwordx4 v[153:156], v206, s[2:3] offset:3584
	ds_read_b128 v[149:152], v0 offset:3584
	ds_write_b128 v0, v[157:160] offset:3072
	s_waitcnt vmcnt(0) lgkmcnt(1)
	v_mul_f64 v[157:158], v[151:152], v[155:156]
	v_fma_f64 v[157:158], v[149:150], v[153:154], -v[157:158]
	v_mul_f64 v[149:150], v[149:150], v[155:156]
	v_fma_f64 v[159:160], v[151:152], v[153:154], v[149:150]
	global_load_dwordx4 v[153:156], v209, s[2:3]
	ds_read_b128 v[149:152], v0 offset:4096
	ds_write_b128 v0, v[157:160] offset:3584
	s_waitcnt vmcnt(0) lgkmcnt(1)
	v_mul_f64 v[157:158], v[151:152], v[155:156]
	v_fma_f64 v[157:158], v[149:150], v[153:154], -v[157:158]
	v_mul_f64 v[149:150], v[149:150], v[155:156]
	v_fma_f64 v[159:160], v[151:152], v[153:154], v[149:150]
	global_load_dwordx4 v[153:156], v208, s[2:3]
	ds_read_b128 v[149:152], v0 offset:4608
	ds_write_b128 v0, v[157:160] offset:4096
	s_waitcnt vmcnt(0) lgkmcnt(1)
	v_mul_f64 v[157:158], v[151:152], v[155:156]
	v_fma_f64 v[157:158], v[149:150], v[153:154], -v[157:158]
	v_mul_f64 v[149:150], v[149:150], v[155:156]
	v_fma_f64 v[159:160], v[151:152], v[153:154], v[149:150]
	global_load_dwordx4 v[153:156], v207, s[2:3]
	ds_read_b128 v[149:152], v0 offset:5120
	s_mov_b32 s2, 0x43842ef
	s_mov_b32 s3, 0xbfefac9e
	;; [unrolled: 1-line block ×3, first 2 shown]
	ds_write_b128 v0, v[157:160] offset:4608
	s_waitcnt vmcnt(0) lgkmcnt(1)
	v_mul_f64 v[157:158], v[151:152], v[155:156]
	v_fma_f64 v[157:158], v[149:150], v[153:154], -v[157:158]
	v_mul_f64 v[149:150], v[149:150], v[155:156]
	v_fma_f64 v[159:160], v[151:152], v[153:154], v[149:150]
	ds_write_b128 v0, v[157:160] offset:5120
	s_waitcnt lgkmcnt(0)
	; wave barrier
	s_waitcnt lgkmcnt(0)
	ds_read_b128 v[185:188], v231
	ds_read_b128 v[189:192], v0 offset:512
	ds_read_b128 v[177:180], v0 offset:1024
	;; [unrolled: 1-line block ×10, first 2 shown]
	s_waitcnt lgkmcnt(9)
	v_add_f64 v[149:150], v[185:186], v[189:190]
	v_add_f64 v[151:152], v[187:188], v[191:192]
	s_waitcnt lgkmcnt(0)
	; wave barrier
	s_waitcnt lgkmcnt(0)
	v_add_f64 v[222:223], v[191:192], -v[196:197]
	v_add_f64 v[226:227], v[189:190], v[194:195]
	v_add_f64 v[228:229], v[189:190], -v[194:195]
	v_add_f64 v[224:225], v[191:192], v[196:197]
	v_add_f64 v[149:150], v[149:150], v[177:178]
	;; [unrolled: 1-line block ×3, first 2 shown]
	v_mul_f64 v[189:190], v[222:223], s[20:21]
	v_mul_f64 v[242:243], v[224:225], s[28:29]
	v_add_f64 v[149:150], v[149:150], v[169:170]
	v_add_f64 v[151:152], v[151:152], v[171:172]
	v_mul_f64 v[244:245], v[224:225], s[36:37]
	v_fma_f64 v[191:192], v[226:227], s[22:23], v[189:190]
	v_fma_f64 v[189:190], v[226:227], s[22:23], -v[189:190]
	v_add_f64 v[149:150], v[149:150], v[161:162]
	v_add_f64 v[151:152], v[151:152], v[163:164]
	;; [unrolled: 1-line block ×3, first 2 shown]
	v_mul_f64 v[191:192], v[224:225], s[22:23]
	v_add_f64 v[214:215], v[185:186], v[189:190]
	v_add_f64 v[149:150], v[149:150], v[153:154]
	;; [unrolled: 1-line block ×3, first 2 shown]
	v_fma_f64 v[189:190], v[228:229], s[20:21], v[191:192]
	v_add_f64 v[149:150], v[149:150], v[157:158]
	v_add_f64 v[151:152], v[151:152], v[159:160]
	;; [unrolled: 1-line block ×3, first 2 shown]
	v_mul_f64 v[189:190], v[222:223], s[12:13]
	v_add_f64 v[149:150], v[149:150], v[165:166]
	v_add_f64 v[151:152], v[151:152], v[167:168]
	;; [unrolled: 1-line block ×7, first 2 shown]
	v_fma_f64 v[194:195], v[228:229], s[24:25], v[191:192]
	v_fma_f64 v[191:192], v[226:227], s[14:15], v[189:190]
	v_fma_f64 v[189:190], v[226:227], s[14:15], -v[189:190]
	v_add_f64 v[151:152], v[151:152], v[196:197]
	v_mul_f64 v[196:197], v[224:225], s[6:7]
	v_add_f64 v[212:213], v[187:188], v[194:195]
	v_add_f64 v[218:219], v[185:186], v[191:192]
	v_mul_f64 v[191:192], v[224:225], s[14:15]
	v_add_f64 v[202:203], v[185:186], v[189:190]
	v_fma_f64 v[224:225], v[228:229], s[38:39], v[244:245]
	v_fma_f64 v[189:190], v[228:229], s[12:13], v[191:192]
	;; [unrolled: 1-line block ×3, first 2 shown]
	v_add_f64 v[224:225], v[187:188], v[224:225]
	v_add_f64 v[204:205], v[187:188], v[189:190]
	v_mul_f64 v[189:190], v[222:223], s[2:3]
	v_add_f64 v[200:201], v[187:188], v[194:195]
	v_fma_f64 v[191:192], v[226:227], s[6:7], v[189:190]
	v_fma_f64 v[189:190], v[226:227], s[6:7], -v[189:190]
	v_add_f64 v[210:211], v[185:186], v[191:192]
	v_add_f64 v[194:195], v[185:186], v[189:190]
	v_fma_f64 v[189:190], v[228:229], s[2:3], v[196:197]
	v_fma_f64 v[191:192], v[228:229], s[16:17], v[196:197]
	v_add_f64 v[196:197], v[187:188], v[189:190]
	v_mul_f64 v[189:190], v[222:223], s[26:27]
	v_add_f64 v[191:192], v[187:188], v[191:192]
	v_fma_f64 v[198:199], v[226:227], s[28:29], v[189:190]
	v_fma_f64 v[189:190], v[226:227], s[28:29], -v[189:190]
	v_add_f64 v[220:221], v[185:186], v[198:199]
	v_fma_f64 v[198:199], v[228:229], s[30:31], v[242:243]
	v_add_f64 v[208:209], v[187:188], v[198:199]
	v_add_f64 v[198:199], v[185:186], v[189:190]
	v_fma_f64 v[189:190], v[228:229], s[26:27], v[242:243]
	v_mul_f64 v[242:243], v[222:223], s[34:35]
	v_add_f64 v[189:190], v[187:188], v[189:190]
	v_fma_f64 v[222:223], v[226:227], s[36:37], v[242:243]
	v_fma_f64 v[226:227], v[226:227], s[36:37], -v[242:243]
	v_add_f64 v[222:223], v[185:186], v[222:223]
	v_add_f64 v[185:186], v[185:186], v[226:227]
	v_fma_f64 v[226:227], v[228:229], s[34:35], v[244:245]
	v_add_f64 v[228:229], v[179:180], v[183:184]
	v_add_f64 v[179:180], v[179:180], -v[183:184]
	v_add_f64 v[187:188], v[187:188], v[226:227]
	v_add_f64 v[226:227], v[177:178], v[181:182]
	v_add_f64 v[177:178], v[177:178], -v[181:182]
	v_mul_f64 v[181:182], v[179:180], s[12:13]
	v_fma_f64 v[183:184], v[226:227], s[14:15], v[181:182]
	v_fma_f64 v[181:182], v[226:227], s[14:15], -v[181:182]
	v_add_f64 v[183:184], v[183:184], v[206:207]
	v_mul_f64 v[206:207], v[228:229], s[14:15]
	v_add_f64 v[181:182], v[181:182], v[214:215]
	v_mul_f64 v[214:215], v[179:180], s[26:27]
	v_fma_f64 v[242:243], v[177:178], s[18:19], v[206:207]
	v_fma_f64 v[206:207], v[177:178], s[12:13], v[206:207]
	v_add_f64 v[212:213], v[242:243], v[212:213]
	v_add_f64 v[206:207], v[206:207], v[216:217]
	v_fma_f64 v[216:217], v[226:227], s[28:29], v[214:215]
	v_fma_f64 v[214:215], v[226:227], s[28:29], -v[214:215]
	v_add_f64 v[216:217], v[216:217], v[218:219]
	v_mul_f64 v[218:219], v[228:229], s[28:29]
	v_add_f64 v[202:203], v[214:215], v[202:203]
	v_fma_f64 v[214:215], v[177:178], s[26:27], v[218:219]
	v_fma_f64 v[242:243], v[177:178], s[30:31], v[218:219]
	v_add_f64 v[204:205], v[214:215], v[204:205]
	v_mul_f64 v[214:215], v[179:180], s[38:39]
	v_add_f64 v[200:201], v[242:243], v[200:201]
	v_fma_f64 v[218:219], v[226:227], s[36:37], v[214:215]
	v_fma_f64 v[214:215], v[226:227], s[36:37], -v[214:215]
	v_add_f64 v[210:211], v[218:219], v[210:211]
	v_mul_f64 v[218:219], v[228:229], s[36:37]
	v_add_f64 v[194:195], v[214:215], v[194:195]
	v_fma_f64 v[214:215], v[177:178], s[38:39], v[218:219]
	v_fma_f64 v[242:243], v[177:178], s[34:35], v[218:219]
	v_add_f64 v[196:197], v[214:215], v[196:197]
	v_mul_f64 v[214:215], v[179:180], s[16:17]
	v_mul_f64 v[179:180], v[179:180], s[24:25]
	v_add_f64 v[191:192], v[242:243], v[191:192]
	v_fma_f64 v[218:219], v[226:227], s[6:7], v[214:215]
	v_fma_f64 v[214:215], v[226:227], s[6:7], -v[214:215]
	v_add_f64 v[218:219], v[218:219], v[220:221]
	v_mul_f64 v[220:221], v[228:229], s[6:7]
	v_add_f64 v[198:199], v[214:215], v[198:199]
	v_fma_f64 v[214:215], v[177:178], s[16:17], v[220:221]
	v_fma_f64 v[242:243], v[177:178], s[2:3], v[220:221]
	v_mul_f64 v[220:221], v[228:229], s[22:23]
	v_add_f64 v[189:190], v[214:215], v[189:190]
	v_fma_f64 v[214:215], v[226:227], s[22:23], v[179:180]
	v_fma_f64 v[179:180], v[226:227], s[22:23], -v[179:180]
	v_add_f64 v[208:209], v[242:243], v[208:209]
	v_add_f64 v[214:215], v[214:215], v[222:223]
	v_fma_f64 v[222:223], v[177:178], s[20:21], v[220:221]
	v_fma_f64 v[177:178], v[177:178], s[24:25], v[220:221]
	v_add_f64 v[179:180], v[179:180], v[185:186]
	v_add_f64 v[185:186], v[169:170], v[173:174]
	v_add_f64 v[169:170], v[169:170], -v[173:174]
	v_add_f64 v[222:223], v[222:223], v[224:225]
	v_add_f64 v[177:178], v[177:178], v[187:188]
	;; [unrolled: 1-line block ×3, first 2 shown]
	v_add_f64 v[171:172], v[171:172], -v[175:176]
	v_mul_f64 v[173:174], v[171:172], s[2:3]
	v_fma_f64 v[175:176], v[185:186], s[6:7], v[173:174]
	v_fma_f64 v[173:174], v[185:186], s[6:7], -v[173:174]
	v_add_f64 v[175:176], v[175:176], v[183:184]
	v_mul_f64 v[183:184], v[187:188], s[6:7]
	v_add_f64 v[173:174], v[173:174], v[181:182]
	v_fma_f64 v[220:221], v[169:170], s[16:17], v[183:184]
	v_fma_f64 v[181:182], v[169:170], s[2:3], v[183:184]
	v_mul_f64 v[183:184], v[171:172], s[38:39]
	v_add_f64 v[212:213], v[220:221], v[212:213]
	v_add_f64 v[181:182], v[181:182], v[206:207]
	v_fma_f64 v[206:207], v[185:186], s[36:37], v[183:184]
	v_fma_f64 v[183:184], v[185:186], s[36:37], -v[183:184]
	v_add_f64 v[206:207], v[206:207], v[216:217]
	v_mul_f64 v[216:217], v[187:188], s[36:37]
	v_add_f64 v[183:184], v[183:184], v[202:203]
	v_fma_f64 v[202:203], v[169:170], s[38:39], v[216:217]
	v_fma_f64 v[220:221], v[169:170], s[34:35], v[216:217]
	v_add_f64 v[202:203], v[202:203], v[204:205]
	v_mul_f64 v[204:205], v[171:172], s[18:19]
	v_add_f64 v[200:201], v[220:221], v[200:201]
	v_fma_f64 v[216:217], v[185:186], s[14:15], v[204:205]
	v_fma_f64 v[204:205], v[185:186], s[14:15], -v[204:205]
	v_add_f64 v[210:211], v[216:217], v[210:211]
	v_mul_f64 v[216:217], v[187:188], s[14:15]
	v_add_f64 v[194:195], v[204:205], v[194:195]
	v_fma_f64 v[204:205], v[169:170], s[18:19], v[216:217]
	v_fma_f64 v[220:221], v[169:170], s[12:13], v[216:217]
	v_add_f64 v[196:197], v[204:205], v[196:197]
	v_mul_f64 v[204:205], v[171:172], s[20:21]
	v_mul_f64 v[171:172], v[171:172], s[26:27]
	v_add_f64 v[191:192], v[220:221], v[191:192]
	v_fma_f64 v[216:217], v[185:186], s[22:23], v[204:205]
	v_fma_f64 v[204:205], v[185:186], s[22:23], -v[204:205]
	v_add_f64 v[216:217], v[216:217], v[218:219]
	v_mul_f64 v[218:219], v[187:188], s[22:23]
	v_add_f64 v[198:199], v[204:205], v[198:199]
	v_mul_f64 v[187:188], v[187:188], s[28:29]
	v_fma_f64 v[204:205], v[169:170], s[20:21], v[218:219]
	v_fma_f64 v[220:221], v[169:170], s[24:25], v[218:219]
	v_add_f64 v[218:219], v[153:154], -v[157:158]
	v_add_f64 v[189:190], v[204:205], v[189:190]
	v_fma_f64 v[204:205], v[185:186], s[28:29], v[171:172]
	v_fma_f64 v[171:172], v[185:186], s[28:29], -v[171:172]
	v_add_f64 v[208:209], v[220:221], v[208:209]
	v_add_f64 v[220:221], v[155:156], -v[159:160]
	v_add_f64 v[204:205], v[204:205], v[214:215]
	v_fma_f64 v[214:215], v[169:170], s[30:31], v[187:188]
	v_add_f64 v[171:172], v[171:172], v[179:180]
	v_fma_f64 v[169:170], v[169:170], s[26:27], v[187:188]
	v_add_f64 v[179:180], v[163:164], v[167:168]
	v_add_f64 v[163:164], v[163:164], -v[167:168]
	v_add_f64 v[214:215], v[214:215], v[222:223]
	v_add_f64 v[169:170], v[169:170], v[177:178]
	;; [unrolled: 1-line block ×3, first 2 shown]
	v_add_f64 v[161:162], v[161:162], -v[165:166]
	v_mul_f64 v[165:166], v[163:164], s[26:27]
	v_mul_f64 v[187:188], v[179:180], s[6:7]
	v_fma_f64 v[167:168], v[177:178], s[28:29], v[165:166]
	v_fma_f64 v[165:166], v[177:178], s[28:29], -v[165:166]
	v_add_f64 v[167:168], v[167:168], v[175:176]
	v_mul_f64 v[175:176], v[179:180], s[28:29]
	v_add_f64 v[165:166], v[165:166], v[173:174]
	v_fma_f64 v[185:186], v[161:162], s[30:31], v[175:176]
	v_fma_f64 v[173:174], v[161:162], s[26:27], v[175:176]
	v_mul_f64 v[175:176], v[163:164], s[16:17]
	v_add_f64 v[185:186], v[185:186], v[212:213]
	v_add_f64 v[173:174], v[173:174], v[181:182]
	v_fma_f64 v[181:182], v[177:178], s[6:7], v[175:176]
	v_fma_f64 v[175:176], v[177:178], s[6:7], -v[175:176]
	v_add_f64 v[181:182], v[181:182], v[206:207]
	v_fma_f64 v[206:207], v[161:162], s[2:3], v[187:188]
	v_add_f64 v[175:176], v[175:176], v[183:184]
	v_fma_f64 v[183:184], v[161:162], s[16:17], v[187:188]
	v_mul_f64 v[187:188], v[163:164], s[20:21]
	v_add_f64 v[200:201], v[206:207], v[200:201]
	v_mul_f64 v[206:207], v[179:180], s[22:23]
	v_add_f64 v[183:184], v[183:184], v[202:203]
	v_fma_f64 v[202:203], v[177:178], s[22:23], v[187:188]
	v_fma_f64 v[187:188], v[177:178], s[22:23], -v[187:188]
	v_add_f64 v[202:203], v[202:203], v[210:211]
	v_add_f64 v[187:188], v[187:188], v[194:195]
	v_fma_f64 v[194:195], v[161:162], s[20:21], v[206:207]
	v_fma_f64 v[210:211], v[161:162], s[24:25], v[206:207]
	v_add_f64 v[194:195], v[194:195], v[196:197]
	v_mul_f64 v[196:197], v[163:164], s[34:35]
	v_add_f64 v[191:192], v[210:211], v[191:192]
	v_mul_f64 v[210:211], v[179:180], s[36:37]
	v_mul_f64 v[163:164], v[163:164], s[18:19]
	v_mul_f64 v[179:180], v[179:180], s[14:15]
	v_fma_f64 v[206:207], v[177:178], s[36:37], v[196:197]
	v_fma_f64 v[196:197], v[177:178], s[36:37], -v[196:197]
	v_fma_f64 v[212:213], v[161:162], s[38:39], v[210:211]
	v_add_f64 v[206:207], v[206:207], v[216:217]
	v_add_f64 v[196:197], v[196:197], v[198:199]
	v_fma_f64 v[198:199], v[161:162], s[34:35], v[210:211]
	v_add_f64 v[216:217], v[155:156], v[159:160]
	v_add_f64 v[208:209], v[212:213], v[208:209]
	;; [unrolled: 1-line block ×3, first 2 shown]
	v_fma_f64 v[198:199], v[177:178], s[14:15], v[163:164]
	v_fma_f64 v[163:164], v[177:178], s[14:15], -v[163:164]
	v_add_f64 v[198:199], v[198:199], v[204:205]
	v_fma_f64 v[204:205], v[161:162], s[12:13], v[179:180]
	v_fma_f64 v[161:162], v[161:162], s[18:19], v[179:180]
	v_add_f64 v[210:211], v[163:164], v[171:172]
	v_add_f64 v[204:205], v[204:205], v[214:215]
	;; [unrolled: 1-line block ×3, first 2 shown]
	v_mul_f64 v[153:154], v[220:221], s[34:35]
	v_add_f64 v[212:213], v[161:162], v[169:170]
	v_fma_f64 v[155:156], v[214:215], s[36:37], v[153:154]
	v_fma_f64 v[153:154], v[214:215], s[36:37], -v[153:154]
	v_add_f64 v[157:158], v[155:156], v[167:168]
	v_add_f64 v[153:154], v[153:154], v[165:166]
	v_mul_f64 v[165:166], v[220:221], s[24:25]
	v_mul_f64 v[167:168], v[216:217], s[22:23]
	v_mul_f64 v[155:156], v[216:217], s[36:37]
	v_fma_f64 v[161:162], v[214:215], s[22:23], v[165:166]
	v_fma_f64 v[163:164], v[218:219], s[20:21], v[167:168]
	v_fma_f64 v[165:166], v[214:215], s[22:23], -v[165:166]
	v_fma_f64 v[167:168], v[218:219], s[24:25], v[167:168]
	v_fma_f64 v[159:160], v[218:219], s[38:39], v[155:156]
	;; [unrolled: 1-line block ×3, first 2 shown]
	v_add_f64 v[161:162], v[161:162], v[181:182]
	v_mul_f64 v[181:182], v[220:221], s[18:19]
	v_add_f64 v[165:166], v[165:166], v[175:176]
	v_add_f64 v[167:168], v[167:168], v[183:184]
	v_mul_f64 v[175:176], v[216:217], s[28:29]
	v_mul_f64 v[183:184], v[216:217], s[14:15]
	v_add_f64 v[155:156], v[155:156], v[173:174]
	v_mul_f64 v[173:174], v[220:221], s[26:27]
	v_add_f64 v[159:160], v[159:160], v[185:186]
	v_fma_f64 v[177:178], v[214:215], s[14:15], v[181:182]
	v_fma_f64 v[181:182], v[214:215], s[14:15], -v[181:182]
	v_add_f64 v[163:164], v[163:164], v[200:201]
	v_fma_f64 v[171:172], v[218:219], s[30:31], v[175:176]
	v_fma_f64 v[179:180], v[218:219], s[12:13], v[183:184]
	;; [unrolled: 1-line block ×4, first 2 shown]
	v_fma_f64 v[173:174], v[214:215], s[28:29], -v[173:174]
	v_fma_f64 v[175:176], v[218:219], s[26:27], v[175:176]
	v_add_f64 v[177:178], v[177:178], v[206:207]
	v_add_f64 v[181:182], v[181:182], v[196:197]
	;; [unrolled: 1-line block ×3, first 2 shown]
	v_mul_f64 v[191:192], v[216:217], s[6:7]
	v_add_f64 v[183:184], v[183:184], v[189:190]
	v_mul_f64 v[189:190], v[220:221], s[2:3]
	v_add_f64 v[173:174], v[173:174], v[187:188]
	v_add_f64 v[169:170], v[169:170], v[202:203]
	;; [unrolled: 1-line block ×4, first 2 shown]
	v_fma_f64 v[187:188], v[218:219], s[16:17], v[191:192]
	v_fma_f64 v[191:192], v[218:219], s[2:3], v[191:192]
	;; [unrolled: 1-line block ×3, first 2 shown]
	v_fma_f64 v[189:190], v[214:215], s[6:7], -v[189:190]
	v_add_f64 v[187:188], v[187:188], v[204:205]
	v_add_f64 v[191:192], v[191:192], v[212:213]
	;; [unrolled: 1-line block ×4, first 2 shown]
	ds_write_b128 v233, v[149:152]
	ds_write_b128 v233, v[157:160] offset:16
	ds_write_b128 v233, v[161:164] offset:32
	ds_write_b128 v233, v[169:172] offset:48
	ds_write_b128 v233, v[177:180] offset:64
	ds_write_b128 v233, v[185:188] offset:80
	ds_write_b128 v233, v[189:192] offset:96
	ds_write_b128 v233, v[181:184] offset:112
	ds_write_b128 v233, v[173:176] offset:128
	ds_write_b128 v233, v[165:168] offset:144
	ds_write_b128 v233, v[153:156] offset:160
	s_waitcnt lgkmcnt(0)
	; wave barrier
	s_waitcnt lgkmcnt(0)
	ds_read_b128 v[161:164], v231
	ds_read_b128 v[177:180], v0 offset:2816
	ds_read_b128 v[157:160], v0 offset:512
	;; [unrolled: 1-line block ×9, first 2 shown]
	s_and_saveexec_b64 s[2:3], vcc
	s_cbranch_execz .LBB0_11
; %bb.10:
	ds_read_b128 v[153:156], v240 offset:2560
	ds_read_b128 v[145:148], v0 offset:5376
.LBB0_11:
	s_or_b64 exec, exec, s[2:3]
	s_waitcnt lgkmcnt(8)
	v_mul_f64 v[194:195], v[51:52], v[179:180]
	v_mul_f64 v[51:52], v[51:52], v[177:178]
	s_waitcnt lgkmcnt(6)
	v_mul_f64 v[196:197], v[47:48], v[183:184]
	v_mul_f64 v[47:48], v[47:48], v[181:182]
	;; [unrolled: 3-line block ×4, first 2 shown]
	v_fma_f64 v[177:178], v[49:50], v[177:178], v[194:195]
	v_fma_f64 v[51:52], v[49:50], v[179:180], -v[51:52]
	v_fma_f64 v[179:180], v[45:46], v[181:182], v[196:197]
	v_fma_f64 v[45:46], v[45:46], v[183:184], -v[47:48]
	v_fma_f64 v[181:182], v[61:62], v[185:186], v[198:199]
	s_waitcnt lgkmcnt(0)
	v_mul_f64 v[47:48], v[75:76], v[175:176]
	v_mul_f64 v[75:76], v[75:76], v[173:174]
	;; [unrolled: 1-line block ×4, first 2 shown]
	v_fma_f64 v[61:62], v[61:62], v[187:188], -v[63:64]
	v_fma_f64 v[63:64], v[57:58], v[189:190], v[200:201]
	v_fma_f64 v[183:184], v[57:58], v[191:192], -v[59:60]
	v_add_f64 v[49:50], v[161:162], -v[177:178]
	v_add_f64 v[51:52], v[163:164], -v[51:52]
	;; [unrolled: 1-line block ×4, first 2 shown]
	v_fma_f64 v[173:174], v[73:74], v[173:174], v[47:48]
	v_fma_f64 v[175:176], v[73:74], v[175:176], -v[75:76]
	v_fma_f64 v[177:178], v[77:78], v[145:146], v[185:186]
	v_fma_f64 v[179:180], v[77:78], v[147:148], -v[79:80]
	v_fma_f64 v[45:46], v[161:162], 2.0, -v[49:50]
	v_fma_f64 v[47:48], v[163:164], 2.0, -v[51:52]
	v_fma_f64 v[77:78], v[157:158], 2.0, -v[57:58]
	v_fma_f64 v[79:80], v[159:160], 2.0, -v[59:60]
	v_add_f64 v[73:74], v[149:150], -v[181:182]
	v_add_f64 v[75:76], v[151:152], -v[61:62]
	;; [unrolled: 1-line block ×8, first 2 shown]
	v_fma_f64 v[61:62], v[149:150], 2.0, -v[73:74]
	v_fma_f64 v[63:64], v[151:152], 2.0, -v[75:76]
	;; [unrolled: 1-line block ×8, first 2 shown]
	s_waitcnt lgkmcnt(0)
	; wave barrier
	ds_write_b128 v237, v[45:48]
	ds_write_b128 v237, v[49:52] offset:176
	ds_write_b128 v236, v[77:80]
	ds_write_b128 v236, v[57:60] offset:176
	;; [unrolled: 2-line block ×5, first 2 shown]
	s_and_saveexec_b64 s[2:3], vcc
	s_cbranch_execz .LBB0_13
; %bb.12:
	v_add_u32_sdwa v169, v239, v232 dst_sel:DWORD dst_unused:UNUSED_PAD src0_sel:DWORD src1_sel:BYTE_0
	v_lshl_add_u32 v169, v169, 4, v241
	ds_write_b128 v169, v[153:156]
	ds_write_b128 v169, v[161:164] offset:176
.LBB0_13:
	s_or_b64 exec, exec, s[2:3]
	s_waitcnt lgkmcnt(0)
	; wave barrier
	s_waitcnt lgkmcnt(0)
	s_and_saveexec_b64 s[2:3], s[0:1]
	s_cbranch_execz .LBB0_15
; %bb.14:
	ds_read_b128 v[45:48], v231
	ds_read_b128 v[49:52], v0 offset:352
	ds_read_b128 v[77:80], v0 offset:704
	;; [unrolled: 1-line block ×15, first 2 shown]
.LBB0_15:
	s_or_b64 exec, exec, s[2:3]
	s_and_saveexec_b64 s[2:3], s[0:1]
	s_cbranch_execz .LBB0_17
; %bb.16:
	s_waitcnt lgkmcnt(13)
	v_mul_f64 v[169:170], v[91:92], v[77:78]
	s_waitcnt lgkmcnt(5)
	v_mul_f64 v[171:172], v[111:112], v[153:154]
	v_mul_f64 v[173:174], v[95:96], v[167:168]
	s_waitcnt lgkmcnt(1)
	v_mul_f64 v[175:176], v[123:124], v[143:144]
	v_mul_f64 v[177:178], v[71:72], v[149:150]
	;; [unrolled: 1-line block ×5, first 2 shown]
	v_fma_f64 v[169:170], v[89:90], v[79:80], -v[169:170]
	v_fma_f64 v[171:172], v[109:110], v[155:156], -v[171:172]
	v_fma_f64 v[173:174], v[93:94], v[165:166], v[173:174]
	v_fma_f64 v[175:176], v[121:122], v[141:142], v[175:176]
	v_fma_f64 v[177:178], v[69:70], v[151:152], -v[177:178]
	v_fma_f64 v[179:180], v[53:54], v[61:62], v[179:180]
	v_fma_f64 v[181:182], v[97:98], v[129:130], v[181:182]
	v_mul_f64 v[123:124], v[123:124], v[141:142]
	v_mul_f64 v[183:184], v[87:88], v[147:148]
	v_add_f64 v[165:166], v[169:170], -v[171:172]
	s_waitcnt lgkmcnt(0)
	v_mul_f64 v[185:186], v[119:120], v[139:140]
	v_add_f64 v[171:172], v[173:174], -v[175:176]
	v_add_f64 v[141:142], v[47:48], -v[177:178]
	v_mul_f64 v[177:178], v[67:68], v[57:58]
	v_add_f64 v[175:176], v[179:180], -v[181:182]
	v_mul_f64 v[181:182], v[107:108], v[161:162]
	v_fma_f64 v[93:94], v[93:94], v[167:168], -v[95:96]
	v_fma_f64 v[95:96], v[121:122], v[143:144], -v[123:124]
	v_mul_f64 v[79:80], v[91:92], v[79:80]
	v_mul_f64 v[91:92], v[111:112], v[155:156]
	v_fma_f64 v[123:124], v[85:86], v[145:146], v[183:184]
	v_fma_f64 v[111:112], v[65:66], v[59:60], -v[177:178]
	v_fma_f64 v[143:144], v[117:118], v[137:138], v[185:186]
	v_fma_f64 v[121:122], v[105:106], v[163:164], -v[181:182]
	v_mul_f64 v[155:156], v[83:84], v[49:50]
	v_mul_f64 v[167:168], v[115:116], v[157:158]
	;; [unrolled: 1-line block ×4, first 2 shown]
	v_fma_f64 v[77:78], v[89:90], v[77:78], v[79:80]
	v_fma_f64 v[79:80], v[109:110], v[153:154], v[91:92]
	v_add_f64 v[91:92], v[123:124], -v[143:144]
	v_add_f64 v[89:90], v[111:112], -v[121:122]
	v_fma_f64 v[109:110], v[81:82], v[51:52], -v[155:156]
	v_fma_f64 v[121:122], v[113:114], v[159:160], -v[167:168]
	v_fma_f64 v[143:144], v[101:102], v[73:74], v[177:178]
	v_fma_f64 v[153:154], v[125:126], v[133:134], v[181:182]
	v_mul_f64 v[87:88], v[87:88], v[145:146]
	v_mul_f64 v[119:120], v[119:120], v[137:138]
	v_mul_f64 v[59:60], v[67:68], v[59:60]
	v_mul_f64 v[67:68], v[107:108], v[163:164]
	v_mul_f64 v[73:74], v[103:104], v[73:74]
	v_mul_f64 v[103:104], v[127:128], v[133:134]
	v_mul_f64 v[51:52], v[83:84], v[51:52]
	v_mul_f64 v[83:84], v[115:116], v[159:160]
	v_add_f64 v[121:122], v[109:110], -v[121:122]
	v_add_f64 v[153:154], v[143:144], -v[153:154]
	v_fma_f64 v[85:86], v[85:86], v[147:148], -v[87:88]
	v_fma_f64 v[87:88], v[117:118], v[139:140], -v[119:120]
	v_fma_f64 v[57:58], v[65:66], v[57:58], v[59:60]
	v_fma_f64 v[59:60], v[105:106], v[161:162], v[67:68]
	v_fma_f64 v[65:66], v[101:102], v[75:76], -v[73:74]
	v_fma_f64 v[67:68], v[125:126], v[135:136], -v[103:104]
	v_fma_f64 v[49:50], v[81:82], v[49:50], v[51:52]
	v_fma_f64 v[51:52], v[113:114], v[157:158], v[83:84]
	v_mul_f64 v[55:56], v[55:56], v[61:62]
	v_mul_f64 v[61:62], v[99:100], v[129:130]
	;; [unrolled: 1-line block ×3, first 2 shown]
	v_add_f64 v[155:156], v[165:166], -v[171:172]
	v_add_f64 v[167:168], v[141:142], -v[175:176]
	;; [unrolled: 1-line block ×10, first 2 shown]
	s_mov_b32 s0, 0x667f3bcd
	v_fma_f64 v[51:52], v[53:54], v[63:64], -v[55:56]
	v_fma_f64 v[53:54], v[97:98], v[131:132], -v[61:62]
	v_fma_f64 v[55:56], v[69:70], v[149:150], v[71:72]
	s_mov_b32 s1, 0x3fe6a09e
	v_fma_f64 v[61:62], v[155:156], s[0:1], v[167:168]
	v_add_f64 v[63:64], v[95:96], v[79:80]
	v_fma_f64 v[69:70], v[177:178], s[0:1], v[73:74]
	v_add_f64 v[71:72], v[75:76], v[59:60]
	v_add_f64 v[83:84], v[67:68], v[81:82]
	v_add_f64 v[53:54], v[51:52], -v[53:54]
	v_add_f64 v[55:56], v[45:46], -v[55:56]
	s_mov_b32 s7, 0xbfe6a09e
	s_mov_b32 s6, s0
	v_fma_f64 v[61:62], v[63:64], s[6:7], v[61:62]
	s_mov_b32 s12, 0xcf328d46
	v_fma_f64 v[69:70], v[71:72], s[6:7], v[69:70]
	v_fma_f64 v[87:88], v[71:72], s[0:1], v[83:84]
	s_mov_b32 s13, 0x3fed906b
	v_add_f64 v[97:98], v[55:56], v[53:54]
	s_mov_b32 s14, 0xa6aea964
	v_fma_f64 v[103:104], v[47:48], 2.0, -v[141:142]
	v_fma_f64 v[51:52], v[51:52], 2.0, -v[53:54]
	;; [unrolled: 1-line block ×3, first 2 shown]
	v_fma_f64 v[99:100], v[69:70], s[12:13], v[61:62]
	v_fma_f64 v[87:88], v[177:178], s[0:1], v[87:88]
	v_fma_f64 v[77:78], v[173:174], 2.0, -v[171:172]
	v_fma_f64 v[101:102], v[63:64], s[0:1], v[97:98]
	v_fma_f64 v[105:106], v[109:110], 2.0, -v[121:122]
	v_fma_f64 v[65:66], v[65:66], 2.0, -v[67:68]
	;; [unrolled: 1-line block ×4, first 2 shown]
	s_mov_b32 s15, 0xbfd87de2
	v_fma_f64 v[47:48], v[87:88], s[14:15], v[99:100]
	v_fma_f64 v[99:100], v[111:112], 2.0, -v[89:90]
	v_fma_f64 v[113:114], v[141:142], 2.0, -v[167:168]
	;; [unrolled: 1-line block ×5, first 2 shown]
	v_fma_f64 v[109:110], v[155:156], s[0:1], v[101:102]
	v_add_f64 v[91:92], v[103:104], -v[51:52]
	v_add_f64 v[77:78], v[53:54], -v[77:78]
	;; [unrolled: 1-line block ×4, first 2 shown]
	v_fma_f64 v[75:76], v[85:86], 2.0, -v[75:76]
	v_fma_f64 v[49:50], v[49:50], 2.0, -v[81:82]
	;; [unrolled: 1-line block ×7, first 2 shown]
	v_fma_f64 v[121:122], v[115:116], s[6:7], v[113:114]
	v_fma_f64 v[63:64], v[79:80], 2.0, -v[63:64]
	v_fma_f64 v[79:80], v[89:90], s[6:7], v[117:118]
	v_fma_f64 v[59:60], v[59:60], 2.0, -v[71:72]
	v_fma_f64 v[81:82], v[81:82], 2.0, -v[83:84]
	;; [unrolled: 1-line block ×3, first 2 shown]
	v_add_f64 v[107:108], v[91:92], -v[77:78]
	v_add_f64 v[111:112], v[65:66], -v[67:68]
	;; [unrolled: 1-line block ×6, first 2 shown]
	v_fma_f64 v[121:122], v[63:64], s[6:7], v[121:122]
	v_fma_f64 v[79:80], v[59:60], s[6:7], v[79:80]
	;; [unrolled: 1-line block ×5, first 2 shown]
	v_add_f64 v[93:94], v[75:76], v[101:102]
	v_fma_f64 v[49:50], v[49:50], 2.0, -v[101:102]
	v_fma_f64 v[57:58], v[57:58], 2.0, -v[67:68]
	v_add_f64 v[125:126], v[95:96], v[71:72]
	s_mov_b32 s17, 0x3fd87de2
	v_fma_f64 v[89:90], v[89:90], s[0:1], v[59:60]
	v_fma_f64 v[115:116], v[115:116], s[0:1], v[63:64]
	s_mov_b32 s16, s14
	v_fma_f64 v[85:86], v[87:88], s[12:13], v[109:110]
	v_fma_f64 v[103:104], v[103:104], 2.0, -v[91:92]
	v_fma_f64 v[119:120], v[119:120], 2.0, -v[71:72]
	v_fma_f64 v[55:56], v[93:94], s[6:7], v[55:56]
	v_fma_f64 v[67:68], v[79:80], s[16:17], v[121:122]
	v_add_f64 v[127:128], v[49:50], -v[57:58]
	v_fma_f64 v[129:130], v[45:46], 2.0, -v[95:96]
	v_fma_f64 v[45:46], v[53:54], 2.0, -v[77:78]
	;; [unrolled: 1-line block ×4, first 2 shown]
	v_fma_f64 v[57:58], v[93:94], s[0:1], v[125:126]
	v_fma_f64 v[75:76], v[89:90], s[16:17], v[115:116]
	s_mov_b32 s19, 0xbfed906b
	s_mov_b32 s18, s12
	v_add_f64 v[119:120], v[103:104], -v[119:120]
	v_fma_f64 v[59:60], v[89:90], s[18:19], v[67:68]
	v_add_f64 v[131:132], v[129:130], -v[45:46]
	v_add_f64 v[99:100], v[77:78], -v[53:54]
	v_fma_f64 v[105:106], v[167:168], 2.0, -v[61:62]
	v_fma_f64 v[73:74], v[73:74], 2.0, -v[69:70]
	v_fma_f64 v[45:46], v[69:70], s[16:17], v[85:86]
	v_fma_f64 v[67:68], v[107:108], 2.0, -v[55:56]
	v_fma_f64 v[53:54], v[111:112], s[0:1], v[57:58]
	v_fma_f64 v[107:108], v[91:92], 2.0, -v[107:108]
	v_fma_f64 v[65:66], v[65:66], 2.0, -v[111:112]
	;; [unrolled: 1-line block ×4, first 2 shown]
	v_fma_f64 v[57:58], v[79:80], s[12:13], v[75:76]
	v_fma_f64 v[79:80], v[83:84], 2.0, -v[87:88]
	v_fma_f64 v[83:84], v[101:102], 2.0, -v[93:94]
	;; [unrolled: 1-line block ×6, first 2 shown]
	v_fma_f64 v[69:70], v[73:74], s[14:15], v[105:106]
	v_fma_f64 v[87:88], v[65:66], s[6:7], v[107:108]
	;; [unrolled: 1-line block ×3, first 2 shown]
	v_fma_f64 v[101:102], v[103:104], 2.0, -v[119:120]
	v_fma_f64 v[77:78], v[77:78], 2.0, -v[99:100]
	;; [unrolled: 1-line block ×4, first 2 shown]
	v_fma_f64 v[95:96], v[81:82], s[18:19], v[93:94]
	v_fma_f64 v[51:52], v[61:62], 2.0, -v[47:48]
	v_add_f64 v[61:62], v[131:132], v[99:100]
	v_fma_f64 v[99:100], v[83:84], s[6:7], v[97:98]
	v_fma_f64 v[103:104], v[79:80], s[14:15], v[113:114]
	;; [unrolled: 1-line block ×5, first 2 shown]
	v_add_f64 v[91:92], v[101:102], -v[77:78]
	v_add_f64 v[89:90], v[117:118], -v[49:50]
	v_fma_f64 v[85:86], v[85:86], s[16:17], v[95:96]
	v_fma_f64 v[81:82], v[65:66], s[0:1], v[99:100]
	;; [unrolled: 1-line block ×3, first 2 shown]
	v_add_f64 v[63:64], v[119:120], -v[127:128]
	v_fma_f64 v[95:96], v[105:106], 2.0, -v[79:80]
	v_fma_f64 v[99:100], v[107:108], 2.0, -v[83:84]
	;; [unrolled: 1-line block ×14, first 2 shown]
	ds_write_b128 v231, v[105:108]
	ds_write_b128 v0, v[101:104] offset:352
	ds_write_b128 v0, v[97:100] offset:704
	;; [unrolled: 1-line block ×15, first 2 shown]
.LBB0_17:
	s_or_b64 exec, exec, s[2:3]
	s_waitcnt lgkmcnt(0)
	; wave barrier
	s_waitcnt lgkmcnt(0)
	ds_read_b128 v[45:48], v231
	ds_read_b128 v[49:52], v0 offset:512
	v_mad_u64_u32 v[55:56], s[0:1], s10, v193, 0
	v_mad_u64_u32 v[57:58], s[2:3], s8, v230, 0
	s_waitcnt lgkmcnt(1)
	v_mul_f64 v[53:54], v[43:44], v[47:48]
	v_mul_f64 v[43:44], v[43:44], v[45:46]
	s_mov_b32 s0, 0x745d1746
	s_mov_b32 s1, 0x3f6745d1
	v_fma_f64 v[45:46], v[41:42], v[45:46], v[53:54]
	v_fma_f64 v[43:44], v[41:42], v[47:48], -v[43:44]
	v_mad_u64_u32 v[41:42], s[2:3], s11, v193, v[56:57]
	v_mov_b32_e32 v42, v58
	s_waitcnt lgkmcnt(0)
	v_mul_f64 v[53:54], v[19:20], v[51:52]
	v_mov_b32_e32 v56, v41
	v_mul_f64 v[19:20], v[19:20], v[49:50]
	v_mad_u64_u32 v[47:48], s[2:3], s9, v230, v[42:43]
	v_mul_f64 v[41:42], v[45:46], s[0:1]
	v_lshlrev_b64 v[45:46], 4, v[55:56]
	v_mov_b32_e32 v58, v47
	v_mov_b32_e32 v47, s5
	v_add_co_u32_e32 v59, vcc, s4, v45
	v_addc_co_u32_e32 v60, vcc, v47, v46, vcc
	ds_read_b128 v[45:48], v0 offset:1024
	v_mul_f64 v[43:44], v[43:44], s[0:1]
	v_fma_f64 v[49:50], v[17:18], v[49:50], v[53:54]
	v_fma_f64 v[51:52], v[17:18], v[51:52], -v[19:20]
	ds_read_b128 v[17:20], v0 offset:1536
	s_waitcnt lgkmcnt(1)
	v_mul_f64 v[53:54], v[39:40], v[47:48]
	v_lshlrev_b64 v[55:56], 4, v[57:58]
	v_mul_f64 v[57:58], v[39:40], v[45:46]
	v_add_co_u32_e32 v55, vcc, v59, v55
	v_addc_co_u32_e32 v56, vcc, v60, v56, vcc
	global_store_dwordx4 v[55:56], v[41:44], off
	v_mul_f64 v[39:40], v[49:50], s[0:1]
	v_mul_f64 v[41:42], v[51:52], s[0:1]
	v_fma_f64 v[43:44], v[37:38], v[45:46], v[53:54]
	s_lshl_b64 s[2:3], s[8:9], 9
	v_fma_f64 v[45:46], v[37:38], v[47:48], -v[57:58]
	s_waitcnt lgkmcnt(0)
	v_mul_f64 v[47:48], v[23:24], v[19:20]
	v_mul_f64 v[23:24], v[23:24], v[17:18]
	v_mov_b32_e32 v59, s3
	v_add_co_u32_e32 v49, vcc, s2, v55
	v_addc_co_u32_e32 v50, vcc, v56, v59, vcc
	global_store_dwordx4 v[49:50], v[39:42], off
	v_mul_f64 v[37:38], v[43:44], s[0:1]
	ds_read_b128 v[41:44], v0 offset:2048
	v_mul_f64 v[39:40], v[45:46], s[0:1]
	v_fma_f64 v[45:46], v[21:22], v[17:18], v[47:48]
	v_fma_f64 v[47:48], v[21:22], v[19:20], -v[23:24]
	ds_read_b128 v[17:20], v0 offset:3072
	s_waitcnt lgkmcnt(1)
	v_mul_f64 v[51:52], v[27:28], v[43:44]
	v_mul_f64 v[27:28], v[27:28], v[41:42]
	ds_read_b128 v[21:24], v240 offset:2560
	v_add_co_u32_e32 v49, vcc, s2, v49
	v_addc_co_u32_e32 v50, vcc, v50, v59, vcc
	global_store_dwordx4 v[49:50], v[37:40], off
	v_fma_f64 v[41:42], v[25:26], v[41:42], v[51:52]
	v_fma_f64 v[27:28], v[25:26], v[43:44], -v[27:28]
	s_waitcnt lgkmcnt(0)
	v_mul_f64 v[43:44], v[15:16], v[23:24]
	v_mul_f64 v[37:38], v[45:46], s[0:1]
	;; [unrolled: 1-line block ×4, first 2 shown]
	v_add_co_u32_e32 v45, vcc, s2, v49
	v_addc_co_u32_e32 v46, vcc, v50, v59, vcc
	v_fma_f64 v[21:22], v[13:14], v[21:22], v[43:44]
	v_mul_f64 v[25:26], v[41:42], s[0:1]
	global_store_dwordx4 v[45:46], v[37:40], off
	v_mul_f64 v[27:28], v[27:28], s[0:1]
	v_fma_f64 v[15:16], v[13:14], v[23:24], -v[15:16]
	v_mul_f64 v[37:38], v[35:36], v[19:20]
	v_mul_f64 v[35:36], v[35:36], v[17:18]
	v_add_co_u32_e32 v39, vcc, s2, v45
	v_mul_f64 v[13:14], v[21:22], s[0:1]
	ds_read_b128 v[21:24], v0 offset:3584
	v_addc_co_u32_e32 v40, vcc, v46, v59, vcc
	global_store_dwordx4 v[39:40], v[25:28], off
	v_mul_f64 v[15:16], v[15:16], s[0:1]
	v_fma_f64 v[25:26], v[33:34], v[17:18], v[37:38]
	v_fma_f64 v[27:28], v[33:34], v[19:20], -v[35:36]
	ds_read_b128 v[17:20], v0 offset:4096
	s_waitcnt lgkmcnt(1)
	v_mul_f64 v[33:34], v[11:12], v[23:24]
	v_mul_f64 v[35:36], v[11:12], v[21:22]
	v_add_co_u32_e32 v37, vcc, s2, v39
	v_addc_co_u32_e32 v38, vcc, v40, v59, vcc
	global_store_dwordx4 v[37:38], v[13:16], off
	v_mul_f64 v[11:12], v[25:26], s[0:1]
	v_mul_f64 v[13:14], v[27:28], s[0:1]
	v_fma_f64 v[15:16], v[9:10], v[21:22], v[33:34]
	v_fma_f64 v[21:22], v[9:10], v[23:24], -v[35:36]
	s_waitcnt lgkmcnt(0)
	v_mul_f64 v[25:26], v[3:4], v[19:20]
	v_mul_f64 v[3:4], v[3:4], v[17:18]
	v_add_co_u32_e32 v27, vcc, s2, v37
	v_addc_co_u32_e32 v28, vcc, v38, v59, vcc
	global_store_dwordx4 v[27:28], v[11:14], off
	v_mul_f64 v[9:10], v[15:16], s[0:1]
	ds_read_b128 v[13:16], v0 offset:4608
	v_mul_f64 v[11:12], v[21:22], s[0:1]
	ds_read_b128 v[21:24], v0 offset:5120
	v_fma_f64 v[17:18], v[1:2], v[17:18], v[25:26]
	v_fma_f64 v[2:3], v[1:2], v[19:20], -v[3:4]
	s_waitcnt lgkmcnt(1)
	v_mul_f64 v[19:20], v[7:8], v[15:16]
	v_mul_f64 v[7:8], v[7:8], v[13:14]
	s_waitcnt lgkmcnt(0)
	v_mul_f64 v[25:26], v[31:32], v[23:24]
	v_mul_f64 v[31:32], v[31:32], v[21:22]
	v_add_co_u32_e32 v27, vcc, s2, v27
	v_addc_co_u32_e32 v28, vcc, v28, v59, vcc
	global_store_dwordx4 v[27:28], v[9:12], off
	v_mul_f64 v[0:1], v[17:18], s[0:1]
	v_fma_f64 v[9:10], v[5:6], v[13:14], v[19:20]
	v_fma_f64 v[6:7], v[5:6], v[15:16], -v[7:8]
	v_mul_f64 v[2:3], v[2:3], s[0:1]
	v_fma_f64 v[11:12], v[29:30], v[21:22], v[25:26]
	v_fma_f64 v[13:14], v[29:30], v[23:24], -v[31:32]
	v_add_co_u32_e32 v15, vcc, s2, v27
	v_addc_co_u32_e32 v16, vcc, v28, v59, vcc
	v_mul_f64 v[4:5], v[9:10], s[0:1]
	v_mul_f64 v[6:7], v[6:7], s[0:1]
	global_store_dwordx4 v[15:16], v[0:3], off
	v_add_co_u32_e32 v8, vcc, s2, v15
	v_mul_f64 v[0:1], v[11:12], s[0:1]
	v_mul_f64 v[2:3], v[13:14], s[0:1]
	v_addc_co_u32_e32 v9, vcc, v16, v59, vcc
	global_store_dwordx4 v[8:9], v[4:7], off
	s_nop 0
	v_add_co_u32_e32 v4, vcc, s2, v8
	v_addc_co_u32_e32 v5, vcc, v9, v59, vcc
	global_store_dwordx4 v[4:5], v[0:3], off
.LBB0_18:
	s_endpgm
	.section	.rodata,"a",@progbits
	.p2align	6, 0x0
	.amdhsa_kernel bluestein_single_fwd_len352_dim1_dp_op_CI_CI
		.amdhsa_group_segment_fixed_size 11264
		.amdhsa_private_segment_fixed_size 0
		.amdhsa_kernarg_size 104
		.amdhsa_user_sgpr_count 6
		.amdhsa_user_sgpr_private_segment_buffer 1
		.amdhsa_user_sgpr_dispatch_ptr 0
		.amdhsa_user_sgpr_queue_ptr 0
		.amdhsa_user_sgpr_kernarg_segment_ptr 1
		.amdhsa_user_sgpr_dispatch_id 0
		.amdhsa_user_sgpr_flat_scratch_init 0
		.amdhsa_user_sgpr_private_segment_size 0
		.amdhsa_uses_dynamic_stack 0
		.amdhsa_system_sgpr_private_segment_wavefront_offset 0
		.amdhsa_system_sgpr_workgroup_id_x 1
		.amdhsa_system_sgpr_workgroup_id_y 0
		.amdhsa_system_sgpr_workgroup_id_z 0
		.amdhsa_system_sgpr_workgroup_info 0
		.amdhsa_system_vgpr_workitem_id 0
		.amdhsa_next_free_vgpr 246
		.amdhsa_next_free_sgpr 40
		.amdhsa_reserve_vcc 1
		.amdhsa_reserve_flat_scratch 0
		.amdhsa_float_round_mode_32 0
		.amdhsa_float_round_mode_16_64 0
		.amdhsa_float_denorm_mode_32 3
		.amdhsa_float_denorm_mode_16_64 3
		.amdhsa_dx10_clamp 1
		.amdhsa_ieee_mode 1
		.amdhsa_fp16_overflow 0
		.amdhsa_exception_fp_ieee_invalid_op 0
		.amdhsa_exception_fp_denorm_src 0
		.amdhsa_exception_fp_ieee_div_zero 0
		.amdhsa_exception_fp_ieee_overflow 0
		.amdhsa_exception_fp_ieee_underflow 0
		.amdhsa_exception_fp_ieee_inexact 0
		.amdhsa_exception_int_div_zero 0
	.end_amdhsa_kernel
	.text
.Lfunc_end0:
	.size	bluestein_single_fwd_len352_dim1_dp_op_CI_CI, .Lfunc_end0-bluestein_single_fwd_len352_dim1_dp_op_CI_CI
                                        ; -- End function
	.section	.AMDGPU.csdata,"",@progbits
; Kernel info:
; codeLenInByte = 14172
; NumSgprs: 44
; NumVgprs: 246
; ScratchSize: 0
; MemoryBound: 0
; FloatMode: 240
; IeeeMode: 1
; LDSByteSize: 11264 bytes/workgroup (compile time only)
; SGPRBlocks: 5
; VGPRBlocks: 61
; NumSGPRsForWavesPerEU: 44
; NumVGPRsForWavesPerEU: 246
; Occupancy: 1
; WaveLimiterHint : 1
; COMPUTE_PGM_RSRC2:SCRATCH_EN: 0
; COMPUTE_PGM_RSRC2:USER_SGPR: 6
; COMPUTE_PGM_RSRC2:TRAP_HANDLER: 0
; COMPUTE_PGM_RSRC2:TGID_X_EN: 1
; COMPUTE_PGM_RSRC2:TGID_Y_EN: 0
; COMPUTE_PGM_RSRC2:TGID_Z_EN: 0
; COMPUTE_PGM_RSRC2:TIDIG_COMP_CNT: 0
	.type	__hip_cuid_69a5399fef351ca8,@object ; @__hip_cuid_69a5399fef351ca8
	.section	.bss,"aw",@nobits
	.globl	__hip_cuid_69a5399fef351ca8
__hip_cuid_69a5399fef351ca8:
	.byte	0                               ; 0x0
	.size	__hip_cuid_69a5399fef351ca8, 1

	.ident	"AMD clang version 19.0.0git (https://github.com/RadeonOpenCompute/llvm-project roc-6.4.0 25133 c7fe45cf4b819c5991fe208aaa96edf142730f1d)"
	.section	".note.GNU-stack","",@progbits
	.addrsig
	.addrsig_sym __hip_cuid_69a5399fef351ca8
	.amdgpu_metadata
---
amdhsa.kernels:
  - .args:
      - .actual_access:  read_only
        .address_space:  global
        .offset:         0
        .size:           8
        .value_kind:     global_buffer
      - .actual_access:  read_only
        .address_space:  global
        .offset:         8
        .size:           8
        .value_kind:     global_buffer
      - .actual_access:  read_only
        .address_space:  global
        .offset:         16
        .size:           8
        .value_kind:     global_buffer
      - .actual_access:  read_only
        .address_space:  global
        .offset:         24
        .size:           8
        .value_kind:     global_buffer
      - .actual_access:  read_only
        .address_space:  global
        .offset:         32
        .size:           8
        .value_kind:     global_buffer
      - .offset:         40
        .size:           8
        .value_kind:     by_value
      - .address_space:  global
        .offset:         48
        .size:           8
        .value_kind:     global_buffer
      - .address_space:  global
        .offset:         56
        .size:           8
        .value_kind:     global_buffer
      - .address_space:  global
        .offset:         64
        .size:           8
        .value_kind:     global_buffer
      - .address_space:  global
        .offset:         72
        .size:           8
        .value_kind:     global_buffer
      - .offset:         80
        .size:           4
        .value_kind:     by_value
      - .address_space:  global
        .offset:         88
        .size:           8
        .value_kind:     global_buffer
      - .address_space:  global
        .offset:         96
        .size:           8
        .value_kind:     global_buffer
    .group_segment_fixed_size: 11264
    .kernarg_segment_align: 8
    .kernarg_segment_size: 104
    .language:       OpenCL C
    .language_version:
      - 2
      - 0
    .max_flat_workgroup_size: 64
    .name:           bluestein_single_fwd_len352_dim1_dp_op_CI_CI
    .private_segment_fixed_size: 0
    .sgpr_count:     44
    .sgpr_spill_count: 0
    .symbol:         bluestein_single_fwd_len352_dim1_dp_op_CI_CI.kd
    .uniform_work_group_size: 1
    .uses_dynamic_stack: false
    .vgpr_count:     246
    .vgpr_spill_count: 0
    .wavefront_size: 64
amdhsa.target:   amdgcn-amd-amdhsa--gfx906
amdhsa.version:
  - 1
  - 2
...

	.end_amdgpu_metadata
